;; amdgpu-corpus repo=ROCm/rocFFT kind=compiled arch=gfx1030 opt=O3
	.text
	.amdgcn_target "amdgcn-amd-amdhsa--gfx1030"
	.amdhsa_code_object_version 6
	.protected	fft_rtc_back_len238_factors_17_7_2_wgs_51_tpt_17_halfLds_half_ip_CI_unitstride_sbrr_C2R_dirReg ; -- Begin function fft_rtc_back_len238_factors_17_7_2_wgs_51_tpt_17_halfLds_half_ip_CI_unitstride_sbrr_C2R_dirReg
	.globl	fft_rtc_back_len238_factors_17_7_2_wgs_51_tpt_17_halfLds_half_ip_CI_unitstride_sbrr_C2R_dirReg
	.p2align	8
	.type	fft_rtc_back_len238_factors_17_7_2_wgs_51_tpt_17_halfLds_half_ip_CI_unitstride_sbrr_C2R_dirReg,@function
fft_rtc_back_len238_factors_17_7_2_wgs_51_tpt_17_halfLds_half_ip_CI_unitstride_sbrr_C2R_dirReg: ; @fft_rtc_back_len238_factors_17_7_2_wgs_51_tpt_17_halfLds_half_ip_CI_unitstride_sbrr_C2R_dirReg
; %bb.0:
	s_load_dwordx4 s[8:11], s[4:5], 0x0
	v_mul_u32_u24_e32 v1, 0xf10, v0
	s_clause 0x1
	s_load_dwordx2 s[2:3], s[4:5], 0x50
	s_load_dwordx2 s[12:13], s[4:5], 0x18
	v_mov_b32_e32 v5, 0
	v_mov_b32_e32 v3, 0
	;; [unrolled: 1-line block ×3, first 2 shown]
	v_lshrrev_b32_e32 v1, 16, v1
	v_mad_u64_u32 v[1:2], null, s6, 3, v[1:2]
	v_mov_b32_e32 v2, v5
	v_mov_b32_e32 v10, v2
	;; [unrolled: 1-line block ×3, first 2 shown]
	s_waitcnt lgkmcnt(0)
	v_cmp_lt_u64_e64 s0, s[10:11], 2
	s_and_b32 vcc_lo, exec_lo, s0
	s_cbranch_vccnz .LBB0_8
; %bb.1:
	s_load_dwordx2 s[0:1], s[4:5], 0x10
	v_mov_b32_e32 v3, 0
	v_mov_b32_e32 v8, v2
	s_add_u32 s6, s12, 8
	v_mov_b32_e32 v4, 0
	v_mov_b32_e32 v7, v1
	s_addc_u32 s7, s13, 0
	s_mov_b64 s[16:17], 1
	s_waitcnt lgkmcnt(0)
	s_add_u32 s14, s0, 8
	s_addc_u32 s15, s1, 0
.LBB0_2:                                ; =>This Inner Loop Header: Depth=1
	s_load_dwordx2 s[18:19], s[14:15], 0x0
                                        ; implicit-def: $vgpr9_vgpr10
	s_mov_b32 s0, exec_lo
	s_waitcnt lgkmcnt(0)
	v_or_b32_e32 v6, s19, v8
	v_cmpx_ne_u64_e32 0, v[5:6]
	s_xor_b32 s1, exec_lo, s0
	s_cbranch_execz .LBB0_4
; %bb.3:                                ;   in Loop: Header=BB0_2 Depth=1
	v_cvt_f32_u32_e32 v2, s18
	v_cvt_f32_u32_e32 v6, s19
	s_sub_u32 s0, 0, s18
	s_subb_u32 s20, 0, s19
	v_fmac_f32_e32 v2, 0x4f800000, v6
	v_rcp_f32_e32 v2, v2
	v_mul_f32_e32 v2, 0x5f7ffffc, v2
	v_mul_f32_e32 v6, 0x2f800000, v2
	v_trunc_f32_e32 v6, v6
	v_fmac_f32_e32 v2, 0xcf800000, v6
	v_cvt_u32_f32_e32 v6, v6
	v_cvt_u32_f32_e32 v2, v2
	v_mul_lo_u32 v9, s0, v6
	v_mul_hi_u32 v10, s0, v2
	v_mul_lo_u32 v11, s20, v2
	v_add_nc_u32_e32 v9, v10, v9
	v_mul_lo_u32 v10, s0, v2
	v_add_nc_u32_e32 v9, v9, v11
	v_mul_hi_u32 v11, v2, v10
	v_mul_lo_u32 v12, v2, v9
	v_mul_hi_u32 v13, v2, v9
	v_mul_hi_u32 v14, v6, v10
	v_mul_lo_u32 v10, v6, v10
	v_mul_hi_u32 v15, v6, v9
	v_mul_lo_u32 v9, v6, v9
	v_add_co_u32 v11, vcc_lo, v11, v12
	v_add_co_ci_u32_e32 v12, vcc_lo, 0, v13, vcc_lo
	v_add_co_u32 v10, vcc_lo, v11, v10
	v_add_co_ci_u32_e32 v10, vcc_lo, v12, v14, vcc_lo
	v_add_co_ci_u32_e32 v11, vcc_lo, 0, v15, vcc_lo
	v_add_co_u32 v9, vcc_lo, v10, v9
	v_add_co_ci_u32_e32 v10, vcc_lo, 0, v11, vcc_lo
	v_add_co_u32 v2, vcc_lo, v2, v9
	v_add_co_ci_u32_e32 v6, vcc_lo, v6, v10, vcc_lo
	v_mul_hi_u32 v9, s0, v2
	v_mul_lo_u32 v11, s20, v2
	v_mul_lo_u32 v10, s0, v6
	v_add_nc_u32_e32 v9, v9, v10
	v_mul_lo_u32 v10, s0, v2
	v_add_nc_u32_e32 v9, v9, v11
	v_mul_hi_u32 v11, v2, v10
	v_mul_lo_u32 v12, v2, v9
	v_mul_hi_u32 v13, v2, v9
	v_mul_hi_u32 v14, v6, v10
	v_mul_lo_u32 v10, v6, v10
	v_mul_hi_u32 v15, v6, v9
	v_mul_lo_u32 v9, v6, v9
	v_add_co_u32 v11, vcc_lo, v11, v12
	v_add_co_ci_u32_e32 v12, vcc_lo, 0, v13, vcc_lo
	v_add_co_u32 v10, vcc_lo, v11, v10
	v_add_co_ci_u32_e32 v10, vcc_lo, v12, v14, vcc_lo
	v_add_co_ci_u32_e32 v11, vcc_lo, 0, v15, vcc_lo
	v_add_co_u32 v9, vcc_lo, v10, v9
	v_add_co_ci_u32_e32 v10, vcc_lo, 0, v11, vcc_lo
	v_add_co_u32 v2, vcc_lo, v2, v9
	v_add_co_ci_u32_e32 v6, vcc_lo, v6, v10, vcc_lo
	v_mul_hi_u32 v15, v7, v2
	v_mad_u64_u32 v[11:12], null, v8, v2, 0
	v_mad_u64_u32 v[9:10], null, v7, v6, 0
	v_mad_u64_u32 v[13:14], null, v8, v6, 0
	v_add_co_u32 v2, vcc_lo, v15, v9
	v_add_co_ci_u32_e32 v6, vcc_lo, 0, v10, vcc_lo
	v_add_co_u32 v2, vcc_lo, v2, v11
	v_add_co_ci_u32_e32 v2, vcc_lo, v6, v12, vcc_lo
	v_add_co_ci_u32_e32 v6, vcc_lo, 0, v14, vcc_lo
	v_add_co_u32 v2, vcc_lo, v2, v13
	v_add_co_ci_u32_e32 v6, vcc_lo, 0, v6, vcc_lo
	v_mul_lo_u32 v11, s19, v2
	v_mad_u64_u32 v[9:10], null, s18, v2, 0
	v_mul_lo_u32 v12, s18, v6
	v_sub_co_u32 v9, vcc_lo, v7, v9
	v_add3_u32 v10, v10, v12, v11
	v_sub_nc_u32_e32 v11, v8, v10
	v_subrev_co_ci_u32_e64 v11, s0, s19, v11, vcc_lo
	v_add_co_u32 v12, s0, v2, 2
	v_add_co_ci_u32_e64 v13, s0, 0, v6, s0
	v_sub_co_u32 v14, s0, v9, s18
	v_sub_co_ci_u32_e32 v10, vcc_lo, v8, v10, vcc_lo
	v_subrev_co_ci_u32_e64 v11, s0, 0, v11, s0
	v_cmp_le_u32_e32 vcc_lo, s18, v14
	v_cmp_eq_u32_e64 s0, s19, v10
	v_cndmask_b32_e64 v14, 0, -1, vcc_lo
	v_cmp_le_u32_e32 vcc_lo, s19, v11
	v_cndmask_b32_e64 v15, 0, -1, vcc_lo
	v_cmp_le_u32_e32 vcc_lo, s18, v9
	;; [unrolled: 2-line block ×3, first 2 shown]
	v_cndmask_b32_e64 v16, 0, -1, vcc_lo
	v_cmp_eq_u32_e32 vcc_lo, s19, v11
	v_cndmask_b32_e64 v9, v16, v9, s0
	v_cndmask_b32_e32 v11, v15, v14, vcc_lo
	v_add_co_u32 v14, vcc_lo, v2, 1
	v_add_co_ci_u32_e32 v15, vcc_lo, 0, v6, vcc_lo
	v_cmp_ne_u32_e32 vcc_lo, 0, v11
	v_cndmask_b32_e32 v10, v15, v13, vcc_lo
	v_cndmask_b32_e32 v11, v14, v12, vcc_lo
	v_cmp_ne_u32_e32 vcc_lo, 0, v9
	v_cndmask_b32_e32 v10, v6, v10, vcc_lo
	v_cndmask_b32_e32 v9, v2, v11, vcc_lo
.LBB0_4:                                ;   in Loop: Header=BB0_2 Depth=1
	s_andn2_saveexec_b32 s0, s1
	s_cbranch_execz .LBB0_6
; %bb.5:                                ;   in Loop: Header=BB0_2 Depth=1
	v_cvt_f32_u32_e32 v2, s18
	s_sub_i32 s1, 0, s18
	v_rcp_iflag_f32_e32 v2, v2
	v_mul_f32_e32 v2, 0x4f7ffffe, v2
	v_cvt_u32_f32_e32 v2, v2
	v_mul_lo_u32 v6, s1, v2
	v_mul_hi_u32 v6, v2, v6
	v_add_nc_u32_e32 v2, v2, v6
	v_mul_hi_u32 v2, v7, v2
	v_mul_lo_u32 v6, v2, s18
	v_add_nc_u32_e32 v9, 1, v2
	v_sub_nc_u32_e32 v6, v7, v6
	v_subrev_nc_u32_e32 v10, s18, v6
	v_cmp_le_u32_e32 vcc_lo, s18, v6
	v_cndmask_b32_e32 v6, v6, v10, vcc_lo
	v_cndmask_b32_e32 v2, v2, v9, vcc_lo
	v_mov_b32_e32 v10, v5
	v_cmp_le_u32_e32 vcc_lo, s18, v6
	v_add_nc_u32_e32 v9, 1, v2
	v_cndmask_b32_e32 v9, v2, v9, vcc_lo
.LBB0_6:                                ;   in Loop: Header=BB0_2 Depth=1
	s_or_b32 exec_lo, exec_lo, s0
	s_load_dwordx2 s[0:1], s[6:7], 0x0
	v_mul_lo_u32 v2, v10, s18
	v_mul_lo_u32 v6, v9, s19
	v_mad_u64_u32 v[11:12], null, v9, s18, 0
	s_add_u32 s16, s16, 1
	s_addc_u32 s17, s17, 0
	s_add_u32 s6, s6, 8
	s_addc_u32 s7, s7, 0
	;; [unrolled: 2-line block ×3, first 2 shown]
	v_add3_u32 v2, v12, v6, v2
	v_sub_co_u32 v6, vcc_lo, v7, v11
	v_sub_co_ci_u32_e32 v2, vcc_lo, v8, v2, vcc_lo
	s_waitcnt lgkmcnt(0)
	v_mul_lo_u32 v7, s1, v6
	v_mul_lo_u32 v2, s0, v2
	v_mad_u64_u32 v[3:4], null, s0, v6, v[3:4]
	v_cmp_ge_u64_e64 s0, s[16:17], s[10:11]
	s_and_b32 vcc_lo, exec_lo, s0
	v_add3_u32 v4, v7, v4, v2
	s_cbranch_vccnz .LBB0_8
; %bb.7:                                ;   in Loop: Header=BB0_2 Depth=1
	v_mov_b32_e32 v7, v9
	v_mov_b32_e32 v8, v10
	s_branch .LBB0_2
.LBB0_8:
	s_lshl_b64 s[0:1], s[10:11], 3
	v_mul_hi_u32 v2, 0xaaaaaaab, v1
	s_add_u32 s0, s12, s0
	s_addc_u32 s1, s13, s1
	s_load_dwordx2 s[4:5], s[4:5], 0x20
	s_load_dwordx2 s[0:1], s[0:1], 0x0
	v_mul_hi_u32 v5, 0xf0f0f10, v0
	v_lshrrev_b32_e32 v2, 1, v2
	v_lshl_add_u32 v6, v2, 1, v2
	v_sub_nc_u32_e32 v1, v1, v6
	s_waitcnt lgkmcnt(0)
	v_cmp_gt_u64_e32 vcc_lo, s[4:5], v[9:10]
	v_mul_lo_u32 v7, s0, v10
	v_mul_lo_u32 v8, s1, v9
	v_mad_u64_u32 v[2:3], null, s0, v9, v[3:4]
	v_mul_u32_u24_e32 v4, 17, v5
	v_mov_b32_e32 v5, 0
	v_sub_nc_u32_e32 v4, v0, v4
	v_add3_u32 v3, v8, v3, v7
	v_mul_u32_u24_e32 v8, 0xef, v1
	v_mov_b32_e32 v0, v4
	v_lshlrev_b64 v[2:3], 2, v[2:3]
	v_lshlrev_b32_e32 v38, 2, v8
	s_and_saveexec_b32 s1, vcc_lo
	s_cbranch_execz .LBB0_12
; %bb.9:
	v_lshlrev_b64 v[6:7], 2, v[4:5]
	v_add_co_u32 v0, s0, s2, v2
	v_add_co_ci_u32_e64 v1, s0, s3, v3, s0
	s_mov_b32 s4, exec_lo
	v_add_co_u32 v6, s0, v0, v6
	v_add_co_ci_u32_e64 v7, s0, v1, v7, s0
	s_clause 0xd
	global_load_dword v9, v[6:7], off
	global_load_dword v10, v[6:7], off offset:68
	global_load_dword v11, v[6:7], off offset:136
	;; [unrolled: 1-line block ×13, first 2 shown]
	v_lshlrev_b32_e32 v6, 2, v4
	v_add3_u32 v7, 0, v38, v6
	v_mov_b32_e32 v6, v5
	v_mov_b32_e32 v5, v4
	s_waitcnt vmcnt(12)
	ds_write2_b32 v7, v9, v10 offset1:17
	s_waitcnt vmcnt(10)
	ds_write2_b32 v7, v11, v12 offset0:34 offset1:51
	s_waitcnt vmcnt(8)
	ds_write2_b32 v7, v13, v14 offset0:68 offset1:85
	;; [unrolled: 2-line block ×6, first 2 shown]
	v_cmpx_eq_u32_e32 16, v4
	s_cbranch_execz .LBB0_11
; %bb.10:
	global_load_dword v0, v[0:1], off offset:952
	v_mov_b32_e32 v5, 16
	v_mov_b32_e32 v6, 0
	;; [unrolled: 1-line block ×3, first 2 shown]
	s_waitcnt vmcnt(0)
	ds_write_b32 v7, v0 offset:888
.LBB0_11:
	s_or_b32 exec_lo, exec_lo, s4
	v_mov_b32_e32 v0, v4
	v_mov_b32_e32 v4, v5
	;; [unrolled: 1-line block ×3, first 2 shown]
.LBB0_12:
	s_or_b32 exec_lo, exec_lo, s1
	v_lshl_add_u32 v24, v8, 2, 0
	v_lshlrev_b32_e32 v1, 2, v0
	s_waitcnt lgkmcnt(0)
	s_barrier
	buffer_gl0_inv
	v_lshlrev_b64 v[4:5], 2, v[4:5]
	v_add_nc_u32_e32 v25, v24, v1
	v_sub_nc_u32_e32 v9, v24, v1
	s_mov_b32 s1, exec_lo
	ds_read_u16 v1, v25
	ds_read_u16 v6, v9 offset:952
	s_waitcnt lgkmcnt(0)
	v_add_f16_e32 v10, v6, v1
	v_sub_f16_e32 v11, v1, v6
	v_cmpx_ne_u32_e32 0, v0
	s_xor_b32 s1, exec_lo, s1
	s_cbranch_execz .LBB0_14
; %bb.13:
	v_add_co_u32 v10, s0, s8, v4
	v_add_co_ci_u32_e64 v11, s0, s9, v5, s0
	v_add_f16_e32 v12, v6, v1
	v_sub_f16_e32 v1, v1, v6
	global_load_dword v7, v[10:11], off offset:884
	ds_read_u16 v10, v9 offset:954
	ds_read_u16 v11, v25 offset:2
	s_waitcnt lgkmcnt(0)
	v_add_f16_e32 v6, v10, v11
	v_sub_f16_e32 v10, v11, v10
	s_waitcnt vmcnt(0)
	v_lshrrev_b32_e32 v13, 16, v7
	v_fma_f16 v14, -v1, v13, v12
	v_fma_f16 v15, v6, v13, -v10
	v_fma_f16 v12, v1, v13, v12
	v_fma_f16 v11, v6, v13, v10
	v_fmac_f16_e32 v14, v7, v6
	v_fmac_f16_e32 v15, v1, v7
	v_fma_f16 v10, -v7, v6, v12
	v_fmac_f16_e32 v11, v1, v7
	v_pack_b32_f16 v6, v14, v15
	ds_write_b32 v9, v6 offset:952
.LBB0_14:
	s_andn2_saveexec_b32 s0, s1
	s_cbranch_execz .LBB0_16
; %bb.15:
	ds_read_b32 v1, v24 offset:476
	s_waitcnt lgkmcnt(0)
	v_pk_mul_f16 v1, 0xc0004000, v1
	ds_write_b32 v24, v1 offset:476
.LBB0_16:
	s_or_b32 exec_lo, exec_lo, s0
	v_mov_b32_e32 v1, 0
	s_add_u32 s0, s8, 0x374
	s_addc_u32 s1, s9, 0
	v_perm_b32 v10, v11, v10, 0x5040100
	v_lshlrev_b64 v[6:7], 2, v[0:1]
	v_add_co_u32 v12, s0, s0, v6
	v_add_co_ci_u32_e64 v13, s0, s1, v7, s0
	s_mov_b32 s1, exec_lo
	s_clause 0x5
	global_load_dword v1, v[12:13], off offset:68
	global_load_dword v14, v[12:13], off offset:136
	;; [unrolled: 1-line block ×6, first 2 shown]
	ds_write_b32 v25, v10
	ds_read_b32 v10, v25 offset:68
	ds_read_b32 v11, v9 offset:884
	s_waitcnt lgkmcnt(0)
	v_add_f16_e32 v13, v10, v11
	v_add_f16_sdwa v18, v11, v10 dst_sel:DWORD dst_unused:UNUSED_PAD src0_sel:WORD_1 src1_sel:WORD_1
	v_sub_f16_e32 v19, v10, v11
	v_sub_f16_sdwa v10, v10, v11 dst_sel:DWORD dst_unused:UNUSED_PAD src0_sel:WORD_1 src1_sel:WORD_1
	s_waitcnt vmcnt(5)
	v_lshrrev_b32_e32 v20, 16, v1
	v_fma_f16 v11, v19, v20, v13
	v_fma_f16 v21, v18, v20, v10
	v_fma_f16 v13, -v19, v20, v13
	v_fma_f16 v10, v18, v20, -v10
	v_fma_f16 v11, -v1, v18, v11
	v_fmac_f16_e32 v21, v19, v1
	v_fmac_f16_e32 v13, v1, v18
	;; [unrolled: 1-line block ×3, first 2 shown]
	v_pack_b32_f16 v1, v11, v21
	s_waitcnt vmcnt(4)
	v_lshrrev_b32_e32 v11, 16, v14
	v_pack_b32_f16 v10, v13, v10
	ds_write_b32 v25, v1 offset:68
	ds_write_b32 v9, v10 offset:884
	ds_read_b32 v1, v25 offset:136
	ds_read_b32 v10, v9 offset:816
	s_waitcnt lgkmcnt(0)
	v_add_f16_e32 v13, v1, v10
	v_add_f16_sdwa v18, v10, v1 dst_sel:DWORD dst_unused:UNUSED_PAD src0_sel:WORD_1 src1_sel:WORD_1
	v_sub_f16_e32 v19, v1, v10
	v_sub_f16_sdwa v1, v1, v10 dst_sel:DWORD dst_unused:UNUSED_PAD src0_sel:WORD_1 src1_sel:WORD_1
	v_fma_f16 v10, v19, v11, v13
	v_fma_f16 v20, v18, v11, v1
	v_fma_f16 v13, -v19, v11, v13
	v_fma_f16 v1, v18, v11, -v1
	s_waitcnt vmcnt(3)
	v_lshrrev_b32_e32 v11, 16, v15
	v_fma_f16 v10, -v14, v18, v10
	v_fmac_f16_e32 v20, v19, v14
	v_fmac_f16_e32 v13, v14, v18
	v_fmac_f16_e32 v1, v19, v14
	v_pack_b32_f16 v10, v10, v20
	v_pack_b32_f16 v1, v13, v1
	ds_write_b32 v25, v10 offset:136
	ds_write_b32 v9, v1 offset:816
	ds_read_b32 v1, v25 offset:204
	ds_read_b32 v10, v9 offset:748
	s_waitcnt lgkmcnt(0)
	v_add_f16_e32 v13, v1, v10
	v_add_f16_sdwa v14, v10, v1 dst_sel:DWORD dst_unused:UNUSED_PAD src0_sel:WORD_1 src1_sel:WORD_1
	v_sub_f16_e32 v18, v1, v10
	v_sub_f16_sdwa v1, v1, v10 dst_sel:DWORD dst_unused:UNUSED_PAD src0_sel:WORD_1 src1_sel:WORD_1
	v_fma_f16 v10, v18, v11, v13
	v_fma_f16 v19, v14, v11, v1
	v_fma_f16 v13, -v18, v11, v13
	v_fma_f16 v1, v14, v11, -v1
	s_waitcnt vmcnt(2)
	v_lshrrev_b32_e32 v11, 16, v16
	v_fma_f16 v10, -v15, v14, v10
	v_fmac_f16_e32 v19, v18, v15
	v_fmac_f16_e32 v13, v15, v14
	v_fmac_f16_e32 v1, v18, v15
	v_pack_b32_f16 v10, v10, v19
	;; [unrolled: 21-line block ×4, first 2 shown]
	v_pack_b32_f16 v1, v13, v1
	ds_write_b32 v25, v10 offset:340
	ds_write_b32 v9, v1 offset:612
	ds_read_b32 v1, v25 offset:408
	ds_read_b32 v10, v9 offset:544
	s_waitcnt lgkmcnt(0)
	v_add_f16_e32 v13, v1, v10
	v_add_f16_sdwa v14, v10, v1 dst_sel:DWORD dst_unused:UNUSED_PAD src0_sel:WORD_1 src1_sel:WORD_1
	v_sub_f16_e32 v15, v1, v10
	v_sub_f16_sdwa v1, v1, v10 dst_sel:DWORD dst_unused:UNUSED_PAD src0_sel:WORD_1 src1_sel:WORD_1
	v_fma_f16 v10, v15, v11, v13
	v_fma_f16 v16, v14, v11, v1
	v_fma_f16 v13, -v15, v11, v13
	v_fma_f16 v1, v14, v11, -v1
	v_lshl_add_u32 v11, v0, 2, 0
	v_fma_f16 v10, -v12, v14, v10
	v_fmac_f16_e32 v16, v15, v12
	v_fmac_f16_e32 v13, v12, v14
	;; [unrolled: 1-line block ×3, first 2 shown]
	v_pack_b32_f16 v10, v10, v16
	v_pack_b32_f16 v12, v13, v1
	v_lshl_add_u32 v1, v8, 2, v11
	ds_write_b32 v25, v10 offset:408
	ds_write_b32 v9, v12 offset:544
	s_waitcnt lgkmcnt(0)
	s_barrier
	buffer_gl0_inv
	s_barrier
	buffer_gl0_inv
	ds_read2_b32 v[22:23], v1 offset0:14 offset1:28
	ds_read_b32 v26, v25
	ds_read2_b32 v[20:21], v1 offset0:42 offset1:56
	ds_read2_b32 v[18:19], v1 offset0:70 offset1:84
	;; [unrolled: 1-line block ×7, first 2 shown]
	s_waitcnt lgkmcnt(0)
	s_barrier
	buffer_gl0_inv
	v_cmpx_gt_u32_e32 14, v0
	s_cbranch_execz .LBB0_18
; %bb.17:
	v_pk_add_f16 v27, v26, v22
	v_pk_add_f16 v29, v20, v15 neg_lo:[0,1] neg_hi:[0,1]
	v_pk_add_f16 v35, v15, v20
	v_pk_add_f16 v28, v23, v12 neg_lo:[0,1] neg_hi:[0,1]
	v_pk_add_f16 v36, v12, v23
	v_pk_add_f16 v27, v27, v23
	v_pk_add_f16 v23, v18, v17 neg_lo:[0,1] neg_hi:[0,1]
	v_pk_add_f16 v32, v17, v18
	v_pk_add_f16 v30, v22, v13 neg_lo:[0,1] neg_hi:[0,1]
	v_pk_add_f16 v37, v13, v22
	v_pk_add_f16 v20, v27, v20
	v_pk_add_f16 v22, v21, v14 neg_lo:[0,1] neg_hi:[0,1]
	v_pk_add_f16 v34, v14, v21
	v_pk_add_f16 v31, v11, v8
	v_mul_f16_e32 v48, 0xbbf7, v30
	v_pk_add_f16 v40, v20, v21
	v_pk_add_f16 v21, v8, v11 neg_lo:[0,1] neg_hi:[0,1]
	v_lshrrev_b32_e32 v41, 16, v37
	v_mul_u32_u24_e32 v39, 0x44, v0
	v_mul_f16_e32 v47, 0xb1e1, v28
	v_pk_add_f16 v18, v40, v18
	v_lshrrev_b32_e32 v40, 16, v36
	v_fmamk_f16 v50, v41, 0x2de8, v48
	v_add3_u32 v20, 0, v39, v38
	v_mul_f16_e32 v46, 0x3bb2, v29
	v_pk_add_f16 v18, v18, v19
	v_lshrrev_b32_e32 v39, 16, v35
	v_pk_mul_f16 v51, 0xb5c8, v30 op_sel_hi:[0,1]
	v_fmamk_f16 v55, v40, 0xbbdd, v47
	v_mul_f16_e32 v45, 0x35c8, v22
	v_pk_add_f16 v8, v18, v8
	v_lshrrev_b32_e32 v38, 16, v34
	v_pk_mul_f16 v52, 0xb964, v28 op_sel_hi:[0,1]
	v_fmamk_f16 v56, v39, 0xb461, v46
	v_pk_add_f16 v27, v19, v16 neg_lo:[0,1] neg_hi:[0,1]
	v_pk_add_f16 v49, v8, v9
	v_pk_add_f16 v33, v16, v19
	v_mul_f16_e32 v44, 0xbb29, v23
	v_lshrrev_b32_e32 v19, 16, v32
	v_pk_mul_f16 v53, 0xbb29, v29 op_sel_hi:[0,1]
	v_pk_add_f16 v49, v49, v10
	v_fmamk_f16 v57, v38, 0x3b76, v45
	v_mul_f16_e32 v43, 0xb836, v27
	v_lshrrev_b32_e32 v18, 16, v33
	v_pk_mul_f16 v54, 0xbbf7, v22 op_sel_hi:[0,1]
	v_pk_add_f16 v11, v49, v11
	v_add_f16_sdwa v49, v26, v50 dst_sel:DWORD dst_unused:UNUSED_PAD src0_sel:WORD_1 src1_sel:DWORD
	v_pk_fma_f16 v50, 0x3b76, v37, v51 op_sel:[0,0,1] op_sel_hi:[0,1,0]
	v_pk_fma_f16 v51, 0x3b76, v37, v51 op_sel:[0,0,1] op_sel_hi:[0,1,0] neg_lo:[0,0,1] neg_hi:[0,0,1]
	v_fmamk_f16 v58, v19, 0x3722, v44
	v_pk_add_f16 v11, v11, v16
	v_add_f16_e32 v55, v55, v49
	v_pk_fma_f16 v16, 0x39e9, v36, v52 op_sel:[0,0,1] op_sel_hi:[0,1,0]
	v_pk_fma_f16 v49, 0x39e9, v36, v52 op_sel:[0,0,1] op_sel_hi:[0,1,0] neg_lo:[0,0,1] neg_hi:[0,0,1]
	v_fmamk_f16 v59, v18, 0xbacd, v43
	v_pk_add_f16 v17, v11, v17
	v_add_f16_e32 v52, v56, v55
	v_bfi_b32 v55, 0xffff, v50, v51
	v_pk_fma_f16 v11, 0x3722, v35, v53 op_sel:[0,0,1] op_sel_hi:[0,1,0]
	v_mov_b32_e32 v63, 0xbbf7
	v_pk_add_f16 v14, v17, v14
	v_pk_fma_f16 v17, 0x3722, v35, v53 op_sel:[0,0,1] op_sel_hi:[0,1,0] neg_lo:[0,0,1] neg_hi:[0,0,1]
	v_bfi_b32 v53, 0xffff, v16, v49
	v_add_f16_e32 v52, v57, v52
	v_pk_add_f16 v55, v26, v55
	v_pk_add_f16 v15, v14, v15
	v_pk_fma_f16 v14, 0x2de8, v34, v54 op_sel:[0,0,1] op_sel_hi:[0,1,0]
	v_bfi_b32 v56, 0xffff, v11, v17
	v_add_f16_e32 v52, v58, v52
	v_pk_add_f16 v53, v53, v55
	v_pk_add_f16 v15, v15, v12
	v_pk_fma_f16 v12, 0x2de8, v34, v54 op_sel:[0,0,1] op_sel_hi:[0,1,0] neg_lo:[0,0,1] neg_hi:[0,0,1]
	v_pk_mul_f16 v54, 0xbbb2, v23 op_sel_hi:[0,1]
	v_add_f16_e32 v58, v59, v52
	v_pk_add_f16 v52, v56, v53
	v_pk_add_f16 v59, v15, v13
	v_bfi_b32 v55, 0xffff, v14, v12
	v_pk_fma_f16 v13, 0xb461, v32, v54 op_sel:[0,0,1] op_sel_hi:[0,1,0]
	v_pk_fma_f16 v15, 0xb461, v32, v54 op_sel:[0,0,1] op_sel_hi:[0,1,0] neg_lo:[0,0,1] neg_hi:[0,0,1]
	v_pk_mul_f16 v54, 0xba62, v27 op_sel_hi:[0,1]
	v_mul_f16_sdwa v74, v30, v63 dst_sel:DWORD dst_unused:UNUSED_PAD src0_sel:WORD_1 src1_sel:DWORD
	v_pk_add_f16 v56, v55, v52
	v_mov_b32_e32 v62, 0xb1e1
	v_bfi_b32 v57, 0xffff, v13, v15
	v_pk_fma_f16 v52, 0xb8d2, v33, v54 op_sel:[0,0,1] op_sel_hi:[0,1,0]
	v_pk_fma_f16 v54, 0xb8d2, v33, v54 op_sel:[0,0,1] op_sel_hi:[0,1,0] neg_lo:[0,0,1] neg_hi:[0,0,1]
	v_mul_f16_e32 v42, 0x3a62, v21
	v_lshrrev_b32_e32 v8, 16, v31
	v_pk_add_f16 v56, v57, v56
	v_pk_add_f16 v53, v9, v10 neg_lo:[0,1] neg_hi:[0,1]
	v_bfi_b32 v57, 0xffff, v52, v54
	v_pk_mul_f16 v61, 0xb836, v21 op_sel_hi:[0,1]
	v_mul_f16_sdwa v75, v28, v62 dst_sel:DWORD dst_unused:UNUSED_PAD src0_sel:WORD_1 src1_sel:DWORD
	v_mov_b32_e32 v66, 0x3bb2
	v_fmamk_f16 v60, v8, 0xb8d2, v42
	v_pk_add_f16 v68, v57, v56
	v_fma_f16 v57, v37, 0x2de8, -v74
	v_pk_add_f16 v55, v10, v9
	v_pk_fma_f16 v9, 0xbacd, v31, v61 op_sel:[0,0,1] op_sel_hi:[0,1,0]
	v_pk_fma_f16 v10, 0xbacd, v31, v61 op_sel:[0,0,1] op_sel_hi:[0,1,0] neg_lo:[0,0,1] neg_hi:[0,0,1]
	v_pk_mul_f16 v64, 0xb1e1, v53 op_sel_hi:[0,1]
	v_add_f16_e32 v70, v26, v57
	v_fma_f16 v71, v36, 0xbbdd, -v75
	v_mul_f16_sdwa v79, v29, v66 dst_sel:DWORD dst_unused:UNUSED_PAD src0_sel:WORD_1 src1_sel:DWORD
	v_mov_b32_e32 v65, 0x35c8
	v_mul_f16_e32 v67, 0x3964, v53
	v_lshrrev_b32_e32 v61, 16, v55
	v_bfi_b32 v69, 0xffff, v9, v10
	v_pk_fma_f16 v56, 0xbbdd, v55, v64 op_sel:[0,0,1] op_sel_hi:[0,1,0]
	v_pk_fma_f16 v57, 0xbbdd, v55, v64 op_sel:[0,0,1] op_sel_hi:[0,1,0] neg_lo:[0,0,1] neg_hi:[0,0,1]
	v_add_f16_e32 v58, v60, v58
	v_add_f16_e32 v60, v71, v70
	v_fma_f16 v64, v35, 0xb461, -v79
	v_mul_f16_sdwa v80, v22, v65 dst_sel:DWORD dst_unused:UNUSED_PAD src0_sel:WORD_1 src1_sel:DWORD
	v_mov_b32_e32 v77, 0xbb29
	v_fmamk_f16 v70, v61, 0x39e9, v67
	v_pk_add_f16 v68, v69, v68
	v_add_f16_e32 v60, v64, v60
	v_fma_f16 v64, v34, 0x3b76, -v80
	v_mul_f16_sdwa v81, v23, v77 dst_sel:DWORD dst_unused:UNUSED_PAD src0_sel:WORD_1 src1_sel:DWORD
	v_mov_b32_e32 v73, 0xb836
	v_bfi_b32 v69, 0xffff, v56, v57
	v_add_f16_e32 v58, v70, v58
	v_add_f16_e32 v60, v64, v60
	v_fma_f16 v64, v32, 0x3722, -v81
	v_mul_f16_sdwa v82, v27, v73 dst_sel:DWORD dst_unused:UNUSED_PAD src0_sel:WORD_1 src1_sel:DWORD
	v_mov_b32_e32 v70, 0x3a62
	v_pk_add_f16 v68, v69, v68
	v_mul_f16_e32 v83, 0xbbb2, v30
	v_add_f16_e32 v60, v64, v60
	v_fma_f16 v64, v33, 0xbacd, -v82
	v_mul_f16_sdwa v84, v21, v70 dst_sel:DWORD dst_unused:UNUSED_PAD src0_sel:WORD_1 src1_sel:DWORD
	ds_write2_b32 v20, v59, v68 offset1:1
	v_fmamk_f16 v59, v41, 0xb461, v83
	v_mul_f16_e32 v85, 0x3836, v28
	v_mov_b32_e32 v71, 0xbbb2
	v_add_f16_e32 v60, v64, v60
	v_fma_f16 v64, v31, 0xb8d2, -v84
	v_add_f16_sdwa v59, v26, v59 dst_sel:DWORD dst_unused:UNUSED_PAD src0_sel:WORD_1 src1_sel:DWORD
	v_fmamk_f16 v68, v40, 0xbacd, v85
	v_mul_f16_e32 v86, 0x3964, v29
	v_mul_f16_sdwa v88, v30, v71 dst_sel:DWORD dst_unused:UNUSED_PAD src0_sel:WORD_1 src1_sel:DWORD
	v_mov_b32_e32 v72, 0x3836
	v_mov_b32_e32 v76, 0x3964
	v_add_f16_e32 v60, v64, v60
	v_add_f16_e32 v59, v68, v59
	v_fmamk_f16 v64, v39, 0x39e9, v86
	v_mul_f16_e32 v89, 0xbb29, v22
	v_fma_f16 v69, v37, 0xb461, -v88
	v_mul_f16_sdwa v90, v28, v72 dst_sel:DWORD dst_unused:UNUSED_PAD src0_sel:WORD_1 src1_sel:DWORD
	v_mul_f16_sdwa v87, v53, v76 dst_sel:DWORD dst_unused:UNUSED_PAD src0_sel:WORD_1 src1_sel:DWORD
	v_add_f16_e32 v59, v64, v59
	v_fmamk_f16 v64, v38, 0x3722, v89
	v_mul_f16_e32 v91, 0xb1e1, v23
	v_add_f16_e32 v69, v26, v69
	v_fma_f16 v78, v36, 0xbacd, -v90
	v_mul_f16_sdwa v92, v29, v76 dst_sel:DWORD dst_unused:UNUSED_PAD src0_sel:WORD_1 src1_sel:DWORD
	v_fma_f16 v68, v55, 0x39e9, -v87
	v_add_f16_e32 v64, v64, v59
	v_fmamk_f16 v93, v19, 0xbbdd, v91
	v_mul_f16_e32 v94, 0x3bf7, v27
	v_add_f16_e32 v69, v78, v69
	v_fma_f16 v78, v35, 0x39e9, -v92
	v_mul_f16_sdwa v95, v22, v77 dst_sel:DWORD dst_unused:UNUSED_PAD src0_sel:WORD_1 src1_sel:DWORD
	v_add_f16_e32 v59, v68, v60
	v_add_f16_e32 v60, v93, v64
	v_fmamk_f16 v64, v18, 0x2de8, v94
	v_add_f16_e32 v68, v78, v69
	v_fma_f16 v69, v34, 0x3722, -v95
	v_mul_f16_sdwa v93, v23, v62 dst_sel:DWORD dst_unused:UNUSED_PAD src0_sel:WORD_1 src1_sel:DWORD
	v_mov_b32_e32 v96, 0x3bf7
	v_mul_f16_e32 v97, 0xb5c8, v21
	v_add_f16_e32 v60, v64, v60
	v_add_f16_e32 v64, v69, v68
	v_fma_f16 v68, v32, 0xbbdd, -v93
	v_mul_f16_sdwa v98, v27, v96 dst_sel:DWORD dst_unused:UNUSED_PAD src0_sel:WORD_1 src1_sel:DWORD
	v_mov_b32_e32 v99, 0xb5c8
	v_fmamk_f16 v69, v8, 0x3b76, v97
	v_mul_f16_e32 v100, 0xba62, v53
	v_fma_f16 v48, v41, 0x2de8, -v48
	v_add_f16_e32 v64, v68, v64
	v_fma_f16 v68, v33, 0x2de8, -v98
	v_mul_f16_sdwa v101, v21, v99 dst_sel:DWORD dst_unused:UNUSED_PAD src0_sel:WORD_1 src1_sel:DWORD
	v_add_f16_e32 v60, v69, v60
	v_fmamk_f16 v69, v61, 0xb8d2, v100
	v_mul_f16_e32 v102, 0xba62, v30
	v_mov_b32_e32 v78, 0xba62
	v_add_f16_sdwa v48, v26, v48 dst_sel:DWORD dst_unused:UNUSED_PAD src0_sel:WORD_1 src1_sel:DWORD
	v_fma_f16 v47, v40, 0xbbdd, -v47
	v_add_f16_e32 v64, v68, v64
	v_fma_f16 v68, v31, 0x3b76, -v101
	v_add_f16_e32 v60, v69, v60
	v_fmamk_f16 v69, v41, 0xb8d2, v102
	v_mul_f16_e32 v103, 0x3bb2, v28
	v_mul_f16_sdwa v105, v30, v78 dst_sel:DWORD dst_unused:UNUSED_PAD src0_sel:WORD_1 src1_sel:DWORD
	v_add_f16_e32 v47, v47, v48
	v_fma_f16 v46, v39, 0xb461, -v46
	v_add_f16_e32 v64, v68, v64
	v_add_f16_sdwa v68, v26, v69 dst_sel:DWORD dst_unused:UNUSED_PAD src0_sel:WORD_1 src1_sel:DWORD
	v_fmamk_f16 v69, v40, 0xb461, v103
	v_mul_f16_e32 v106, 0xb5c8, v29
	v_fma_f16 v108, v37, 0xb8d2, -v105
	v_mul_f16_sdwa v109, v28, v66 dst_sel:DWORD dst_unused:UNUSED_PAD src0_sel:WORD_1 src1_sel:DWORD
	v_fmac_f16_e32 v74, 0x2de8, v37
	v_add_f16_e32 v46, v46, v47
	v_fma_f16 v45, v38, 0x3b76, -v45
	v_add_f16_e32 v68, v69, v68
	v_fmamk_f16 v69, v39, 0x3b76, v106
	v_mul_f16_e32 v110, 0xb836, v22
	v_add_f16_e32 v108, v26, v108
	v_fma_f16 v111, v36, 0xb461, -v109
	v_mul_f16_sdwa v112, v29, v99 dst_sel:DWORD dst_unused:UNUSED_PAD src0_sel:WORD_1 src1_sel:DWORD
	v_fma_f16 v83, v41, 0xb461, -v83
	v_add_f16_e32 v47, v26, v74
	v_fmac_f16_e32 v75, 0xbbdd, v36
	v_add_f16_e32 v45, v45, v46
	v_fma_f16 v44, v19, 0x3722, -v44
	v_add_f16_e32 v68, v69, v68
	v_fmamk_f16 v69, v38, 0xbacd, v110
	v_mul_f16_e32 v113, 0x3bf7, v23
	v_add_f16_e32 v108, v111, v108
	v_fma_f16 v111, v35, 0x3b76, -v112
	v_mul_f16_sdwa v114, v22, v73 dst_sel:DWORD dst_unused:UNUSED_PAD src0_sel:WORD_1 src1_sel:DWORD
	v_add_f16_sdwa v83, v26, v83 dst_sel:DWORD dst_unused:UNUSED_PAD src0_sel:WORD_1 src1_sel:DWORD
	v_fma_f16 v85, v40, 0xbacd, -v85
	v_fmac_f16_e32 v88, 0xb461, v37
	v_add_f16_e32 v47, v75, v47
	v_fmac_f16_e32 v79, 0xb461, v35
	v_add_f16_e32 v44, v44, v45
	v_mul_f16_e32 v45, 0x3722, v41
	v_mul_f16_sdwa v104, v53, v78 dst_sel:DWORD dst_unused:UNUSED_PAD src0_sel:WORD_1 src1_sel:DWORD
	v_add_f16_e32 v68, v69, v68
	v_fmamk_f16 v69, v19, 0x2de8, v113
	v_mul_f16_e32 v115, 0xb964, v27
	v_add_f16_e32 v108, v111, v108
	v_fma_f16 v111, v34, 0xbacd, -v114
	v_mul_f16_sdwa v96, v23, v96 dst_sel:DWORD dst_unused:UNUSED_PAD src0_sel:WORD_1 src1_sel:DWORD
	v_mov_b32_e32 v116, 0xb964
	v_add_f16_e32 v83, v85, v83
	v_fma_f16 v85, v39, 0x39e9, -v86
	v_add_f16_e32 v86, v26, v88
	v_fmac_f16_e32 v90, 0xbacd, v36
	v_fma_f16 v43, v18, 0xbacd, -v43
	v_add_f16_e32 v47, v79, v47
	v_fmac_f16_e32 v80, 0x3b76, v34
	v_fmamk_f16 v74, v30, 0x3b29, v45
	v_mul_f16_e32 v75, 0xb8d2, v40
	v_fma_f16 v107, v55, 0xb8d2, -v104
	v_add_f16_e32 v68, v69, v68
	v_fmamk_f16 v69, v18, 0x39e9, v115
	v_add_f16_e32 v108, v111, v108
	v_fma_f16 v111, v32, 0x2de8, -v96
	v_mul_f16_sdwa v117, v27, v116 dst_sel:DWORD dst_unused:UNUSED_PAD src0_sel:WORD_1 src1_sel:DWORD
	v_mul_f16_e32 v118, 0xb836, v30
	v_add_f16_e32 v83, v85, v83
	v_fma_f16 v85, v38, 0x3722, -v89
	v_add_f16_e32 v86, v90, v86
	v_fmac_f16_e32 v92, 0x39e9, v35
	v_add_f16_e32 v43, v43, v44
	v_add_f16_e32 v44, v80, v47
	v_fmac_f16_e32 v81, 0x3722, v32
	v_add_f16_sdwa v47, v26, v74 dst_sel:DWORD dst_unused:UNUSED_PAD src0_sel:WORD_1 src1_sel:DWORD
	v_fmamk_f16 v74, v28, 0x3a62, v75
	v_mul_f16_e32 v79, 0xbbdd, v39
	v_add_f16_e32 v64, v107, v64
	v_add_f16_e32 v68, v69, v68
	v_mul_f16_e32 v107, 0xb1e1, v21
	v_add_f16_e32 v69, v111, v108
	v_fma_f16 v108, v33, 0x39e9, -v117
	v_mul_f16_sdwa v111, v21, v62 dst_sel:DWORD dst_unused:UNUSED_PAD src0_sel:WORD_1 src1_sel:DWORD
	v_fmamk_f16 v120, v41, 0xbacd, v118
	v_mul_f16_e32 v121, 0x3b29, v28
	v_add_f16_e32 v83, v85, v83
	v_fma_f16 v85, v19, 0xbbdd, -v91
	v_add_f16_e32 v86, v92, v86
	v_fmac_f16_e32 v95, 0x3722, v34
	v_fma_f16 v42, v8, 0xb8d2, -v42
	v_add_f16_e32 v44, v81, v44
	v_fmac_f16_e32 v82, 0xbacd, v33
	v_add_f16_e32 v47, v74, v47
	v_fmamk_f16 v74, v29, 0xb1e1, v79
	v_mul_f16_e32 v80, 0xb461, v38
	v_fmamk_f16 v122, v8, 0xbbdd, v107
	v_add_f16_e32 v69, v108, v69
	v_add_f16_sdwa v108, v26, v120 dst_sel:DWORD dst_unused:UNUSED_PAD src0_sel:WORD_1 src1_sel:DWORD
	v_fmamk_f16 v120, v40, 0x3722, v121
	v_mul_f16_e32 v124, 0xbbf7, v29
	v_fma_f16 v125, v31, 0xbbdd, -v111
	v_add_f16_e32 v83, v85, v83
	v_fma_f16 v85, v18, 0x2de8, -v94
	v_add_f16_e32 v86, v95, v86
	v_fmac_f16_e32 v93, 0xbbdd, v32
	v_add_f16_e32 v42, v42, v43
	v_add_f16_e32 v43, v82, v44
	;; [unrolled: 1-line block ×3, first 2 shown]
	v_fmamk_f16 v47, v22, 0xbbb2, v80
	v_mul_f16_e32 v74, 0x39e9, v19
	v_mov_b32_e32 v119, 0x3b29
	v_add_f16_e32 v68, v122, v68
	v_add_f16_e32 v108, v120, v108
	v_fmamk_f16 v120, v39, 0x2de8, v124
	v_mul_f16_e32 v122, 0x3a62, v22
	v_add_f16_e32 v69, v125, v69
	v_mul_f16_sdwa v125, v30, v73 dst_sel:DWORD dst_unused:UNUSED_PAD src0_sel:WORD_1 src1_sel:DWORD
	v_add_f16_e32 v83, v85, v83
	v_fma_f16 v85, v8, 0x3b76, -v97
	v_add_f16_e32 v86, v93, v86
	v_fmac_f16_e32 v98, 0x2de8, v33
	v_fma_f16 v67, v61, 0x39e9, -v67
	v_add_f16_e32 v44, v47, v44
	v_fmamk_f16 v47, v23, 0xb964, v74
	v_mul_f16_sdwa v77, v30, v77 dst_sel:DWORD dst_unused:UNUSED_PAD src0_sel:WORD_1 src1_sel:DWORD
	v_add_f16_e32 v108, v120, v108
	v_fmamk_f16 v120, v38, 0xb8d2, v122
	v_mul_f16_e32 v128, 0xb5c8, v23
	v_fma_f16 v130, v37, 0xbacd, -v125
	v_mul_f16_sdwa v131, v28, v119 dst_sel:DWORD dst_unused:UNUSED_PAD src0_sel:WORD_1 src1_sel:DWORD
	v_add_f16_e32 v48, v85, v83
	v_fma_f16 v83, v61, 0xb8d2, -v100
	v_add_f16_e32 v85, v98, v86
	v_fmac_f16_e32 v101, 0x3b76, v31
	v_fmac_f16_e32 v84, 0xb8d2, v31
	v_add_f16_e32 v42, v67, v42
	v_mul_f16_e32 v67, 0x3b76, v18
	v_add_f16_e32 v44, v47, v44
	v_fmamk_f16 v47, v37, 0x3722, v77
	v_mul_f16_sdwa v81, v28, v78 dst_sel:DWORD dst_unused:UNUSED_PAD src0_sel:WORD_1 src1_sel:DWORD
	v_mov_b32_e32 v82, 0x31e1
	v_mul_f16_e32 v123, 0x3b29, v53
	v_add_f16_e32 v108, v120, v108
	v_fmamk_f16 v120, v19, 0x3b76, v128
	v_mul_f16_e32 v132, 0xb1e1, v27
	v_add_f16_e32 v130, v26, v130
	v_fma_f16 v133, v36, 0x3722, -v131
	v_mul_f16_sdwa v134, v29, v63 dst_sel:DWORD dst_unused:UNUSED_PAD src0_sel:WORD_1 src1_sel:DWORD
	v_add_f16_e32 v48, v83, v48
	v_add_f16_e32 v46, v101, v85
	v_add_f16_e32 v43, v84, v43
	v_fmac_f16_e32 v87, 0x39e9, v55
	v_fmamk_f16 v83, v27, 0x35c8, v67
	v_mul_f16_e32 v84, 0x2de8, v8
	v_add_f16_e32 v47, v26, v47
	v_fmamk_f16 v85, v36, 0xb8d2, v81
	v_mul_f16_sdwa v82, v29, v82 dst_sel:DWORD dst_unused:UNUSED_PAD src0_sel:WORD_1 src1_sel:DWORD
	v_fmamk_f16 v127, v61, 0x3722, v123
	v_add_f16_e32 v108, v120, v108
	v_fmamk_f16 v120, v18, 0xbbdd, v132
	v_mul_f16_e32 v135, 0x3964, v21
	v_add_f16_e32 v130, v133, v130
	v_fma_f16 v133, v35, 0x2de8, -v134
	v_mul_f16_sdwa v136, v22, v70 dst_sel:DWORD dst_unused:UNUSED_PAD src0_sel:WORD_1 src1_sel:DWORD
	v_add_f16_e32 v43, v87, v43
	v_add_f16_e32 v44, v83, v44
	v_fmamk_f16 v83, v21, 0x3bf7, v84
	v_mul_f16_e32 v86, 0xbacd, v61
	v_add_f16_e32 v47, v85, v47
	v_fmamk_f16 v85, v35, 0xbbdd, v82
	v_mul_f16_sdwa v87, v22, v66 dst_sel:DWORD dst_unused:UNUSED_PAD src0_sel:WORD_1 src1_sel:DWORD
	v_fmac_f16_e32 v45, 0xbb29, v30
	v_add_f16_e32 v68, v127, v68
	v_add_f16_e32 v70, v120, v108
	v_fmamk_f16 v108, v8, 0x39e9, v135
	v_add_f16_e32 v120, v133, v130
	v_fma_f16 v127, v34, 0xb8d2, -v136
	v_mul_f16_sdwa v130, v23, v99 dst_sel:DWORD dst_unused:UNUSED_PAD src0_sel:WORD_1 src1_sel:DWORD
	v_fma_f16 v118, v41, 0xbacd, -v118
	v_mul_f16_sdwa v133, v21, v76 dst_sel:DWORD dst_unused:UNUSED_PAD src0_sel:WORD_1 src1_sel:DWORD
	v_fma_f16 v102, v41, 0xb8d2, -v102
	v_add_f16_e32 v44, v83, v44
	v_fmamk_f16 v83, v53, 0x3836, v86
	v_mul_f16_e32 v41, 0x39e9, v41
	v_add_f16_e32 v47, v85, v47
	v_fmamk_f16 v85, v34, 0xb461, v87
	v_mul_f16_sdwa v76, v23, v76 dst_sel:DWORD dst_unused:UNUSED_PAD src0_sel:WORD_1 src1_sel:DWORD
	v_add_f16_sdwa v45, v26, v45 dst_sel:DWORD dst_unused:UNUSED_PAD src0_sel:WORD_1 src1_sel:DWORD
	v_fmac_f16_e32 v75, 0xba62, v28
	v_add_f16_e32 v70, v108, v70
	v_add_f16_e32 v108, v127, v120
	v_fma_f16 v120, v32, 0x3b76, -v130
	v_mul_f16_sdwa v127, v27, v62 dst_sel:DWORD dst_unused:UNUSED_PAD src0_sel:WORD_1 src1_sel:DWORD
	v_add_f16_sdwa v118, v26, v118 dst_sel:DWORD dst_unused:UNUSED_PAD src0_sel:WORD_1 src1_sel:DWORD
	v_fma_f16 v121, v40, 0x3722, -v121
	v_add_f16_sdwa v102, v26, v102 dst_sel:DWORD dst_unused:UNUSED_PAD src0_sel:WORD_1 src1_sel:DWORD
	v_fma_f16 v103, v40, 0xb461, -v103
	v_add_f16_e32 v44, v83, v44
	v_fmamk_f16 v83, v30, 0x3964, v41
	v_mul_f16_e32 v40, 0x2de8, v40
	v_add_f16_e32 v47, v85, v47
	v_fmamk_f16 v85, v32, 0x39e9, v76
	v_mul_f16_sdwa v89, v27, v99 dst_sel:DWORD dst_unused:UNUSED_PAD src0_sel:WORD_1 src1_sel:DWORD
	v_add_f16_e32 v45, v75, v45
	v_fmac_f16_e32 v79, 0x31e1, v29
	v_add_f16_e32 v108, v120, v108
	v_fma_f16 v120, v33, 0xbbdd, -v127
	v_add_f16_e32 v118, v121, v118
	v_fma_f16 v121, v39, 0x2de8, -v124
	;; [unrolled: 2-line block ×3, first 2 shown]
	v_add_f16_sdwa v83, v26, v83 dst_sel:DWORD dst_unused:UNUSED_PAD src0_sel:WORD_1 src1_sel:DWORD
	v_fmamk_f16 v90, v28, 0x3bf7, v40
	v_mul_f16_e32 v39, 0xb8d2, v39
	v_add_f16_e32 v47, v85, v47
	v_fmamk_f16 v85, v33, 0x3b76, v89
	v_mul_f16_sdwa v91, v21, v63 dst_sel:DWORD dst_unused:UNUSED_PAD src0_sel:WORD_1 src1_sel:DWORD
	v_add_f16_e32 v45, v79, v45
	v_fmac_f16_e32 v80, 0x3bb2, v22
	v_add_f16_e32 v108, v120, v108
	v_fma_f16 v120, v31, 0x39e9, -v133
	v_mul_f16_sdwa v137, v53, v71 dst_sel:DWORD dst_unused:UNUSED_PAD src0_sel:WORD_1 src1_sel:DWORD
	v_add_f16_e32 v71, v121, v118
	v_fma_f16 v118, v38, 0xb8d2, -v122
	v_add_f16_e32 v102, v103, v102
	v_fma_f16 v103, v38, 0xbacd, -v110
	v_add_f16_e32 v83, v90, v83
	v_fmamk_f16 v90, v29, 0x3a62, v39
	v_mul_f16_e32 v38, 0xbbdd, v38
	v_add_f16_e32 v47, v85, v47
	v_fmamk_f16 v85, v31, 0x2de8, v91
	v_mul_f16_sdwa v73, v53, v73 dst_sel:DWORD dst_unused:UNUSED_PAD src0_sel:WORD_1 src1_sel:DWORD
	v_add_f16_e32 v45, v80, v45
	v_fmac_f16_e32 v74, 0x3964, v23
	v_fma_f16 v77, v37, 0x3722, -v77
	v_add_f16_e32 v108, v120, v108
	v_fma_f16 v120, v55, 0xb461, -v137
	v_add_f16_e32 v118, v118, v71
	;; [unrolled: 2-line block ×4, first 2 shown]
	v_fmamk_f16 v90, v22, 0x31e1, v38
	v_mul_f16_e32 v19, 0xbacd, v19
	v_add_f16_e32 v47, v85, v47
	v_fmamk_f16 v85, v55, 0xbacd, v73
	v_mul_f16_sdwa v92, v30, v116 dst_sel:DWORD dst_unused:UNUSED_PAD src0_sel:WORD_1 src1_sel:DWORD
	v_add_f16_e32 v45, v74, v45
	v_fmac_f16_e32 v67, 0xb5c8, v27
	v_add_f16_e32 v74, v26, v77
	v_fma_f16 v77, v36, 0xb8d2, -v81
	v_add_f16_e32 v71, v120, v108
	v_add_f16_e32 v108, v121, v118
	v_fma_f16 v118, v18, 0xbbdd, -v132
	v_add_f16_e32 v102, v103, v102
	v_fma_f16 v103, v18, 0x39e9, -v115
	v_add_f16_e32 v83, v90, v83
	v_fmamk_f16 v90, v23, 0xb836, v19
	v_mul_f16_e32 v18, 0xb461, v18
	v_add_f16_e32 v47, v85, v47
	v_fmamk_f16 v85, v37, 0x39e9, v92
	v_mul_f16_sdwa v63, v28, v63 dst_sel:DWORD dst_unused:UNUSED_PAD src0_sel:WORD_1 src1_sel:DWORD
	v_add_f16_e32 v45, v67, v45
	v_add_f16_e32 v67, v77, v74
	v_fma_f16 v74, v35, 0xbbdd, -v82
	v_fmac_f16_e32 v41, 0xb964, v30
	v_add_f16_e32 v108, v118, v108
	v_fma_f16 v118, v8, 0x39e9, -v135
	v_add_f16_e32 v102, v103, v102
	v_fma_f16 v103, v8, 0xbbdd, -v107
	v_add_f16_e32 v83, v90, v83
	v_fmamk_f16 v90, v27, 0xbbb2, v18
	v_mul_f16_e32 v8, 0x3722, v8
	v_add_f16_e32 v85, v26, v85
	v_fmamk_f16 v93, v36, 0x2de8, v63
	v_mul_f16_sdwa v78, v29, v78 dst_sel:DWORD dst_unused:UNUSED_PAD src0_sel:WORD_1 src1_sel:DWORD
	v_add_f16_e32 v67, v74, v67
	v_fma_f16 v74, v34, 0xb461, -v87
	v_add_f16_sdwa v41, v26, v41 dst_sel:DWORD dst_unused:UNUSED_PAD src0_sel:WORD_1 src1_sel:DWORD
	v_fmac_f16_e32 v40, 0xbbf7, v28
	v_fma_f16 v77, v37, 0x39e9, -v92
	v_add_f16_e32 v83, v90, v83
	v_fmamk_f16 v90, v21, 0xbb29, v8
	v_add_f16_e32 v85, v93, v85
	v_fmamk_f16 v93, v35, 0xb8d2, v78
	v_mul_f16_sdwa v62, v22, v62 dst_sel:DWORD dst_unused:UNUSED_PAD src0_sel:WORD_1 src1_sel:DWORD
	v_add_f16_e32 v67, v74, v67
	v_fma_f16 v74, v32, 0x39e9, -v76
	v_add_f16_e32 v40, v40, v41
	v_fmac_f16_e32 v39, 0xba62, v29
	v_add_f16_e32 v41, v26, v77
	v_fma_f16 v63, v36, 0x2de8, -v63
	v_mul_f16_sdwa v126, v53, v119 dst_sel:DWORD dst_unused:UNUSED_PAD src0_sel:WORD_1 src1_sel:DWORD
	v_add_f16_e32 v83, v90, v83
	v_add_f16_e32 v85, v93, v85
	v_fmamk_f16 v90, v34, 0xbbdd, v62
	v_mul_f16_sdwa v72, v23, v72 dst_sel:DWORD dst_unused:UNUSED_PAD src0_sel:WORD_1 src1_sel:DWORD
	v_add_f16_e32 v67, v74, v67
	v_fma_f16 v74, v33, 0x3b76, -v89
	v_add_f16_e32 v39, v39, v40
	v_fmac_f16_e32 v38, 0xb1e1, v22
	v_add_f16_e32 v40, v63, v41
	v_fma_f16 v41, v35, 0xb8d2, -v78
	v_fma_f16 v129, v55, 0x3722, -v126
	v_add_f16_e32 v75, v90, v85
	v_fmamk_f16 v85, v32, 0xbacd, v72
	v_mul_f16_sdwa v66, v27, v66 dst_sel:DWORD dst_unused:UNUSED_PAD src0_sel:WORD_1 src1_sel:DWORD
	v_add_f16_e32 v63, v74, v67
	v_fma_f16 v67, v31, 0x2de8, -v91
	v_add_f16_e32 v38, v38, v39
	v_fmac_f16_e32 v19, 0x3836, v23
	v_add_f16_e32 v39, v41, v40
	v_fma_f16 v40, v34, 0xbbdd, -v62
	v_add_f16_e32 v69, v129, v69
	v_mul_f16_e32 v129, 0xbbb2, v53
	v_add_f16_e32 v75, v85, v75
	v_fmamk_f16 v79, v33, 0xb461, v66
	v_mul_f16_sdwa v85, v21, v119 dst_sel:DWORD dst_unused:UNUSED_PAD src0_sel:WORD_1 src1_sel:DWORD
	v_fmac_f16_e32 v125, 0xbacd, v37
	v_fmac_f16_e32 v105, 0xb8d2, v37
	v_add_f16_e32 v41, v67, v63
	v_fma_f16 v62, v55, 0xbacd, -v73
	v_add_f16_e32 v19, v19, v38
	v_fmac_f16_e32 v18, 0x3bb2, v27
	v_add_f16_e32 v38, v40, v39
	v_fma_f16 v39, v32, 0xbacd, -v72
	v_pk_mul_f16 v37, 0xbbdd, v37 op_sel_hi:[0,1]
	v_fmamk_f16 v124, v61, 0xb461, v129
	v_add_f16_e32 v106, v118, v108
	v_fma_f16 v108, v61, 0xb461, -v129
	v_add_f16_e32 v102, v103, v102
	v_fma_f16 v103, v61, 0x3722, -v123
	v_mul_f16_e32 v61, 0x3b76, v61
	v_add_f16_e32 v75, v79, v75
	v_fmamk_f16 v79, v31, 0x3722, v85
	v_mul_f16_sdwa v65, v53, v65 dst_sel:DWORD dst_unused:UNUSED_PAD src0_sel:WORD_1 src1_sel:DWORD
	v_fmac_f16_e32 v131, 0x3722, v36
	v_fmac_f16_e32 v109, 0xb461, v36
	v_add_f16_e32 v40, v62, v41
	v_add_f16_e32 v18, v18, v19
	v_fmac_f16_e32 v8, 0x3b29, v21
	v_add_f16_e32 v19, v39, v38
	v_fma_f16 v38, v33, 0xb461, -v66
	v_pk_fma_f16 v39, 0xb1e1, v30, v37 op_sel:[0,0,1] op_sel_hi:[0,1,0]
	v_alignbit_b32 v41, s0, v26, 16
	v_pk_mul_f16 v36, 0x3b76, v36 op_sel_hi:[0,1]
	v_fmamk_f16 v90, v53, 0xb5c8, v61
	v_add_f16_e32 v75, v79, v75
	v_fmamk_f16 v79, v55, 0x3b76, v65
	v_add_f16_e32 v8, v8, v18
	v_add_f16_e32 v18, v38, v19
	v_pk_add_f16 v19, v41, v39
	v_pk_fma_f16 v38, 0x35c8, v28, v36 op_sel:[0,0,1] op_sel_hi:[0,1,0]
	v_pk_fma_f16 v30, 0xb1e1, v30, v37 op_sel:[0,0,1] op_sel_hi:[0,1,0] neg_lo:[0,1,0] neg_hi:[0,1,0]
	v_alignbit_b32 v39, s0, v39, 16
	v_fmac_f16_e32 v134, 0x2de8, v35
	v_fmac_f16_e32 v112, 0x3b76, v35
	v_add_f16_e32 v83, v90, v83
	v_add_f16_e32 v75, v79, v75
	v_pk_mul_f16 v35, 0xbacd, v35 op_sel_hi:[0,1]
	v_pk_add_f16 v19, v38, v19
	v_pk_add_f16 v30, v26, v30 op_sel:[1,0] op_sel_hi:[0,1]
	v_pk_fma_f16 v28, 0x35c8, v28, v36 op_sel:[0,0,1] op_sel_hi:[0,1,0] neg_lo:[0,1,0] neg_hi:[0,1,0]
	v_pk_add_f16 v36, v26, v39
	v_alignbit_b32 v38, s0, v38, 16
	v_add_f16_e32 v122, v26, v125
	v_fmac_f16_e32 v136, 0xb8d2, v34
	v_add_f16_e32 v105, v26, v105
	v_fmac_f16_e32 v114, 0xbacd, v34
	v_pack_b32_f16 v41, v47, v44
	v_pack_b32_f16 v44, v75, v83
	v_pk_fma_f16 v62, 0xb836, v29, v35 op_sel:[0,0,1] op_sel_hi:[0,1,0]
	v_pk_mul_f16 v34, 0x39e9, v34 op_sel_hi:[0,1]
	v_pk_add_f16 v28, v28, v30
	v_pk_add_f16 v30, v38, v36
	v_bfi_b32 v38, 0xffff, v51, v50
	v_add_f16_e32 v120, v131, v122
	v_fmac_f16_e32 v130, 0x3b76, v32
	v_add_f16_e32 v105, v109, v105
	v_fmac_f16_e32 v96, 0x2de8, v32
	v_fmac_f16_e32 v104, 0xb8d2, v55
	v_fma_f16 v47, v31, 0x3722, -v85
	ds_write2_b32 v20, v44, v41 offset0:2 offset1:3
	v_pk_fma_f16 v41, 0x3964, v22, v34 op_sel:[0,0,1] op_sel_hi:[0,1,0]
	v_pk_mul_f16 v32, 0xb8d2, v32 op_sel_hi:[0,1]
	v_pk_fma_f16 v29, 0xb836, v29, v35 op_sel:[0,0,1] op_sel_hi:[0,1,0] neg_lo:[0,1,0] neg_hi:[0,1,0]
	v_alignbit_b32 v35, s0, v62, 16
	v_pk_add_f16 v26, v26, v38
	v_bfi_b32 v16, 0xffff, v49, v16
	v_add_f16_e32 v120, v134, v120
	v_fmac_f16_e32 v127, 0xbbdd, v33
	v_add_f16_e32 v105, v112, v105
	v_fmac_f16_e32 v117, 0x39e9, v33
	v_add_f16_e32 v46, v104, v46
	v_add_f16_e32 v18, v47, v18
	v_pk_add_f16 v19, v62, v19
	v_fma_f16 v44, v55, 0x3b76, -v65
	v_pack_b32_f16 v42, v43, v42
	v_pk_fma_f16 v43, 0xba62, v23, v32 op_sel:[0,0,1] op_sel_hi:[0,1,0]
	v_pk_mul_f16 v33, 0x3722, v33 op_sel_hi:[0,1]
	v_pk_add_f16 v28, v29, v28
	v_pk_fma_f16 v22, 0x3964, v22, v34 op_sel:[0,0,1] op_sel_hi:[0,1,0] neg_lo:[0,1,0] neg_hi:[0,1,0]
	v_pk_add_f16 v29, v35, v30
	v_alignbit_b32 v30, s0, v41, 16
	v_pk_add_f16 v16, v16, v26
	v_bfi_b32 v11, 0xffff, v17, v11
	v_add_f16_e32 v118, v136, v120
	v_fmac_f16_e32 v133, 0x39e9, v31
	v_add_f16_e32 v105, v114, v105
	v_fmac_f16_e32 v111, 0xbbdd, v31
	v_pack_b32_f16 v46, v46, v48
	v_pk_add_f16 v19, v41, v19
	v_add_f16_e32 v18, v44, v18
	v_pk_fma_f16 v44, 0x3b29, v27, v33 op_sel:[0,0,1] op_sel_hi:[0,1,0]
	v_pk_mul_f16 v31, 0xb461, v31 op_sel_hi:[0,1]
	v_pk_add_f16 v22, v22, v28
	v_pk_fma_f16 v23, 0xba62, v23, v32 op_sel:[0,0,1] op_sel_hi:[0,1,0] neg_lo:[0,1,0] neg_hi:[0,1,0]
	v_pk_add_f16 v28, v30, v29
	v_alignbit_b32 v29, s0, v43, 16
	v_pk_add_f16 v11, v11, v16
	v_bfi_b32 v12, 0xffff, v12, v14
	v_add_f16_e32 v106, v108, v106
	v_add_f16_e32 v108, v130, v118
	;; [unrolled: 1-line block ×3, first 2 shown]
	ds_write2_b32 v20, v42, v46 offset0:4 offset1:5
	v_pk_add_f16 v19, v43, v19
	v_pk_fma_f16 v46, 0xbbb2, v21, v31 op_sel:[0,0,1] op_sel_hi:[0,1,0]
	v_pk_mul_f16 v39, 0x2de8, v55 op_sel_hi:[0,1]
	v_pk_add_f16 v17, v23, v22
	v_pk_fma_f16 v22, 0x3b29, v27, v33 op_sel:[0,0,1] op_sel_hi:[0,1,0] neg_lo:[0,1,0] neg_hi:[0,1,0]
	v_pk_add_f16 v23, v29, v28
	v_alignbit_b32 v26, s0, v44, 16
	v_pk_add_f16 v11, v12, v11
	v_bfi_b32 v12, 0xffff, v15, v13
	v_add_f16_e32 v108, v127, v108
	v_add_f16_e32 v88, v117, v96
	v_fmac_f16_e32 v84, 0xbbf7, v21
	v_pk_add_f16 v19, v44, v19
	v_pk_fma_f16 v36, 0x3bf7, v53, v39 op_sel:[0,0,1] op_sel_hi:[0,1,0]
	v_pk_add_f16 v14, v22, v17
	v_pk_fma_f16 v16, 0xbbb2, v21, v31 op_sel:[0,0,1] op_sel_hi:[0,1,0] neg_lo:[0,1,0] neg_hi:[0,1,0]
	v_pk_add_f16 v17, v26, v23
	v_alignbit_b32 v21, s0, v46, 16
	v_pk_add_f16 v11, v12, v11
	v_bfi_b32 v12, 0xffff, v54, v52
	v_add_f16_e32 v108, v133, v108
	v_fmac_f16_e32 v137, 0xb461, v55
	v_add_f16_e32 v88, v111, v88
	v_fmac_f16_e32 v126, 0x3722, v55
	v_pk_add_f16 v19, v46, v19
	v_pk_add_f16 v13, v16, v14
	v_pk_fma_f16 v14, 0x3bf7, v53, v39 op_sel:[0,0,1] op_sel_hi:[0,1,0] neg_lo:[0,1,0] neg_hi:[0,1,0]
	v_pk_add_f16 v15, v21, v17
	v_alignbit_b32 v16, s0, v36, 16
	v_add_f16_e32 v45, v84, v45
	v_fmac_f16_e32 v86, 0xb836, v53
	v_fmac_f16_e32 v61, 0x35c8, v53
	v_pk_add_f16 v11, v12, v11
	v_bfi_b32 v9, 0xffff, v10, v9
	v_add_f16_e32 v107, v137, v108
	v_add_f16_e32 v102, v103, v102
	v_add_f16_e32 v88, v126, v88
	v_pk_add_f16 v17, v36, v19
	v_pk_add_f16 v13, v14, v13
	;; [unrolled: 1-line block ×3, first 2 shown]
	v_add_f16_e32 v70, v124, v70
	v_add_f16_e32 v45, v86, v45
	;; [unrolled: 1-line block ×3, first 2 shown]
	v_pk_add_f16 v9, v9, v11
	v_bfi_b32 v11, 0xffff, v57, v56
	v_pack_b32_f16 v42, v107, v106
	v_pack_b32_f16 v37, v88, v102
	v_alignbit_b32 v10, v17, v13, 16
	v_pack_b32_f16 v12, v14, v13
	v_pack_b32_f16 v13, v69, v68
	;; [unrolled: 1-line block ×7, first 2 shown]
	v_pk_add_f16 v9, v11, v9
	ds_write2_b32 v20, v37, v42 offset0:6 offset1:7
	ds_write2_b32 v20, v12, v10 offset0:8 offset1:9
	;; [unrolled: 1-line block ×5, first 2 shown]
	ds_write_b32 v20, v9 offset:64
.LBB0_18:
	s_or_b32 exec_lo, exec_lo, s1
	v_mul_u32_u24_e32 v8, 6, v0
	s_waitcnt lgkmcnt(0)
	s_barrier
	buffer_gl0_inv
	v_add_co_u32 v4, s0, s8, v4
	v_lshlrev_b32_e32 v12, 2, v8
	v_add_co_ci_u32_e64 v5, s0, s9, v5, s0
	v_add_co_u32 v6, s0, s8, v6
	s_clause 0x1
	global_load_dwordx4 v[8:11], v12, s[8:9]
	global_load_dwordx2 v[12:13], v12, s[8:9] offset:16
	ds_read2_b32 v[14:15], v1 offset0:119 offset1:136
	ds_read2_b32 v[16:17], v1 offset0:153 offset1:170
	ds_read2_b32 v[18:19], v1 offset0:187 offset1:204
	ds_read2_b32 v[20:21], v1 offset0:51 offset1:68
	ds_read2_b32 v[22:23], v1 offset0:85 offset1:102
	ds_read2_b32 v[26:27], v1 offset0:17 offset1:34
	ds_read_b32 v28, v25
	ds_read_b32 v29, v1 offset:884
	v_add_co_ci_u32_e64 v7, s0, s9, v7, s0
	s_waitcnt vmcnt(0) lgkmcnt(0)
	s_barrier
	buffer_gl0_inv
	v_lshrrev_b32_e32 v30, 16, v15
	v_lshrrev_b32_e32 v31, 16, v17
	v_lshrrev_b32_e32 v32, 16, v19
	v_lshrrev_b32_e32 v39, 16, v21
	v_lshrrev_b32_e32 v33, 16, v20
	v_lshrrev_b32_e32 v37, 16, v27
	v_lshrrev_b32_e32 v34, 16, v22
	v_lshrrev_b32_e32 v38, 16, v18
	v_lshrrev_b32_e32 v40, 16, v29
	v_lshrrev_b32_e32 v41, 16, v23
	v_lshrrev_b32_e32 v35, 16, v14
	v_lshrrev_b32_e32 v36, 16, v16
	v_mul_f16_sdwa v42, v8, v37 dst_sel:DWORD dst_unused:UNUSED_PAD src0_sel:WORD_1 src1_sel:DWORD
	v_mul_f16_sdwa v43, v8, v27 dst_sel:DWORD dst_unused:UNUSED_PAD src0_sel:WORD_1 src1_sel:DWORD
	;; [unrolled: 1-line block ×4, first 2 shown]
	v_mul_f16_sdwa v50, v31, v12 dst_sel:DWORD dst_unused:UNUSED_PAD src0_sel:DWORD src1_sel:WORD_1
	v_mul_f16_sdwa v51, v17, v12 dst_sel:DWORD dst_unused:UNUSED_PAD src0_sel:DWORD src1_sel:WORD_1
	;; [unrolled: 1-line block ×4, first 2 shown]
	v_mul_f16_sdwa v46, v10, v41 dst_sel:DWORD dst_unused:UNUSED_PAD src0_sel:WORD_1 src1_sel:DWORD
	v_mul_f16_sdwa v47, v10, v23 dst_sel:DWORD dst_unused:UNUSED_PAD src0_sel:WORD_1 src1_sel:DWORD
	v_mul_f16_sdwa v48, v30, v11 dst_sel:DWORD dst_unused:UNUSED_PAD src0_sel:DWORD src1_sel:WORD_1
	v_mul_f16_sdwa v49, v15, v11 dst_sel:DWORD dst_unused:UNUSED_PAD src0_sel:DWORD src1_sel:WORD_1
	;; [unrolled: 1-line block ×14, first 2 shown]
	v_fmac_f16_e32 v42, v8, v27
	v_fma_f16 v27, v8, v37, -v43
	v_fmac_f16_e32 v44, v9, v21
	v_fma_f16 v21, v9, v39, -v45
	;; [unrolled: 2-line block ×12, first 2 shown]
	v_add_f16_e32 v14, v42, v52
	v_add_f16_e32 v16, v27, v19
	;; [unrolled: 1-line block ×4, first 2 shown]
	v_sub_f16_e32 v18, v42, v52
	v_sub_f16_e32 v19, v27, v19
	;; [unrolled: 1-line block ×4, first 2 shown]
	v_add_f16_e32 v21, v46, v48
	v_add_f16_e32 v29, v23, v15
	v_sub_f16_e32 v30, v48, v46
	v_sub_f16_e32 v15, v15, v23
	v_add_f16_e32 v23, v54, v64
	v_add_f16_e32 v31, v8, v13
	v_sub_f16_e32 v8, v8, v13
	v_add_f16_e32 v13, v56, v62
	v_add_f16_e32 v33, v9, v12
	;; [unrolled: 1-line block ×3, first 2 shown]
	v_sub_f16_e32 v10, v11, v10
	v_add_f16_e32 v11, v20, v14
	v_add_f16_e32 v37, v22, v16
	v_sub_f16_e32 v9, v9, v12
	v_add_f16_e32 v12, v58, v60
	v_sub_f16_e32 v32, v54, v64
	v_sub_f16_e32 v34, v56, v62
	;; [unrolled: 1-line block ×6, first 2 shown]
	v_add_f16_e32 v40, v30, v27
	v_sub_f16_e32 v42, v30, v27
	v_sub_f16_e32 v27, v27, v18
	v_add_f16_e32 v44, v13, v23
	v_add_f16_e32 v45, v33, v31
	v_sub_f16_e32 v39, v22, v16
	v_sub_f16_e32 v16, v16, v29
	;; [unrolled: 1-line block ×3, first 2 shown]
	v_add_f16_e32 v41, v15, v17
	v_sub_f16_e32 v43, v15, v17
	v_add_f16_e32 v11, v21, v11
	v_add_f16_e32 v21, v29, v37
	v_sub_f16_e32 v17, v17, v19
	v_sub_f16_e32 v46, v13, v23
	;; [unrolled: 1-line block ×3, first 2 shown]
	v_add_f16_e32 v49, v10, v9
	v_sub_f16_e32 v51, v10, v9
	v_sub_f16_e32 v9, v9, v8
	;; [unrolled: 1-line block ×7, first 2 shown]
	v_add_f16_e32 v48, v36, v34
	v_sub_f16_e32 v50, v36, v34
	v_sub_f16_e32 v34, v34, v32
	v_add_f16_e32 v18, v40, v18
	v_mul_f16_e32 v14, 0x3a52, v14
	v_mul_f16_e32 v29, 0x2b26, v20
	;; [unrolled: 1-line block ×4, first 2 shown]
	v_add_f16_e32 v12, v12, v44
	v_add_f16_e32 v35, v35, v45
	v_sub_f16_e32 v15, v19, v15
	v_add_f16_e32 v19, v41, v19
	v_mul_f16_e32 v16, 0x3a52, v16
	v_mul_f16_e32 v37, 0x2b26, v22
	;; [unrolled: 1-line block ×3, first 2 shown]
	v_add_f16_e32 v52, v11, v28
	v_add_f16_sdwa v28, v21, v28 dst_sel:DWORD dst_unused:UNUSED_PAD src0_sel:DWORD src1_sel:WORD_1
	v_sub_f16_e32 v10, v8, v10
	v_mul_f16_e32 v43, 0xbb00, v17
	v_add_f16_e32 v8, v49, v8
	v_mul_f16_e32 v44, 0x2b26, v13
	v_mul_f16_e32 v49, 0x3846, v51
	;; [unrolled: 1-line block ×3, first 2 shown]
	v_sub_f16_e32 v36, v32, v36
	v_add_f16_e32 v32, v48, v32
	v_mul_f16_e32 v23, 0x3a52, v23
	v_mul_f16_e32 v31, 0x3a52, v31
	;; [unrolled: 1-line block ×5, first 2 shown]
	v_fmamk_f16 v20, v20, 0x2b26, v14
	v_fma_f16 v29, v38, 0x39e0, -v29
	v_fma_f16 v14, v38, 0xb9e0, -v14
	v_fmamk_f16 v38, v30, 0xb574, v40
	v_fma_f16 v27, v27, 0xbb00, -v40
	v_fma_f16 v30, v30, 0x3574, -v42
	v_add_f16_e32 v40, v12, v26
	v_add_f16_sdwa v26, v35, v26 dst_sel:DWORD dst_unused:UNUSED_PAD src0_sel:DWORD src1_sel:WORD_1
	v_fmamk_f16 v22, v22, 0x2b26, v16
	v_fma_f16 v37, v39, 0x39e0, -v37
	v_fma_f16 v16, v39, 0xb9e0, -v16
	v_fmamk_f16 v39, v15, 0xb574, v41
	v_fmamk_f16 v11, v11, 0xbcab, v52
	;; [unrolled: 1-line block ×3, first 2 shown]
	v_fma_f16 v17, v17, 0xbb00, -v41
	v_fma_f16 v15, v15, 0x3574, -v43
	;; [unrolled: 1-line block ×3, first 2 shown]
	v_fmamk_f16 v44, v10, 0xb574, v49
	v_fma_f16 v9, v9, 0xbb00, -v49
	v_fma_f16 v10, v10, 0x3574, -v51
	v_fmamk_f16 v13, v13, 0x2b26, v23
	v_fmamk_f16 v33, v33, 0x2b26, v31
	v_fma_f16 v42, v47, 0x39e0, -v45
	v_fma_f16 v23, v46, 0xb9e0, -v23
	;; [unrolled: 1-line block ×3, first 2 shown]
	v_fmamk_f16 v43, v36, 0xb574, v48
	v_fma_f16 v34, v34, 0xbb00, -v48
	v_fma_f16 v36, v36, 0x3574, -v50
	v_fmac_f16_e32 v38, 0xb70e, v18
	v_fmac_f16_e32 v27, 0xb70e, v18
	;; [unrolled: 1-line block ×3, first 2 shown]
	v_fmamk_f16 v12, v12, 0xbcab, v40
	v_fmamk_f16 v18, v35, 0xbcab, v26
	v_fmac_f16_e32 v39, 0xb70e, v19
	v_add_f16_e32 v20, v20, v11
	v_add_f16_e32 v22, v22, v21
	v_fmac_f16_e32 v17, 0xb70e, v19
	v_fmac_f16_e32 v15, 0xb70e, v19
	;; [unrolled: 1-line block ×5, first 2 shown]
	v_pack_b32_f16 v8, v52, v28
	v_pack_b32_f16 v19, v40, v26
	v_add_f16_e32 v26, v29, v11
	v_add_f16_e32 v28, v37, v21
	;; [unrolled: 1-line block ×4, first 2 shown]
	v_fmac_f16_e32 v43, 0xb70e, v32
	v_fmac_f16_e32 v34, 0xb70e, v32
	;; [unrolled: 1-line block ×3, first 2 shown]
	v_add_f16_e32 v13, v13, v12
	v_add_f16_e32 v16, v33, v18
	;; [unrolled: 1-line block ×7, first 2 shown]
	v_sub_f16_e32 v31, v22, v38
	v_add_f16_e32 v32, v15, v11
	v_sub_f16_e32 v33, v14, v30
	v_sub_f16_e32 v35, v26, v17
	v_add_f16_e32 v37, v27, v28
	v_add_f16_e32 v17, v17, v26
	v_sub_f16_e32 v26, v28, v27
	v_sub_f16_e32 v11, v11, v15
	v_add_f16_e32 v14, v30, v14
	v_sub_f16_e32 v15, v20, v39
	v_add_f16_e32 v20, v38, v22
	v_add_f16_e32 v22, v44, v13
	v_sub_f16_e32 v27, v16, v43
	v_add_f16_e32 v28, v10, v12
	v_sub_f16_e32 v30, v18, v36
	v_sub_f16_e32 v38, v21, v9
	v_add_f16_e32 v39, v34, v29
	v_add_f16_e32 v9, v9, v21
	v_sub_f16_e32 v21, v29, v34
	v_sub_f16_e32 v10, v12, v10
	v_add_f16_e32 v12, v36, v18
	v_sub_f16_e32 v13, v13, v44
	v_add_f16_e32 v16, v43, v16
	v_pack_b32_f16 v18, v23, v31
	v_pack_b32_f16 v23, v32, v33
	;; [unrolled: 1-line block ×12, first 2 shown]
	ds_write2_b32 v1, v8, v18 offset1:17
	ds_write2_b32 v1, v23, v29 offset0:34 offset1:51
	ds_write2_b32 v1, v17, v11 offset0:68 offset1:85
	;; [unrolled: 1-line block ×6, first 2 shown]
	s_waitcnt lgkmcnt(0)
	s_barrier
	buffer_gl0_inv
	s_clause 0x6
	global_load_dword v16, v[6:7], off offset:816
	global_load_dword v17, v[4:5], off offset:408
	;; [unrolled: 1-line block ×7, first 2 shown]
	ds_read2_b32 v[4:5], v1 offset0:119 offset1:136
	ds_read2_b32 v[6:7], v1 offset0:153 offset1:170
	;; [unrolled: 1-line block ×3, first 2 shown]
	ds_read_b32 v23, v1 offset:884
	ds_read_b32 v25, v25
	ds_read2_b32 v[10:11], v1 offset0:17 offset1:34
	ds_read2_b32 v[12:13], v1 offset0:51 offset1:68
	;; [unrolled: 1-line block ×3, first 2 shown]
	s_waitcnt vmcnt(0) lgkmcnt(0)
	s_barrier
	buffer_gl0_inv
	v_pk_mul_f16 v32, v23, v16 op_sel:[0,1]
	v_pk_mul_f16 v26, v17, v4 op_sel:[0,1]
	;; [unrolled: 1-line block ×7, first 2 shown]
	v_pk_fma_f16 v33, v17, v4, v26 op_sel:[0,0,1] op_sel_hi:[1,1,0]
	v_pk_fma_f16 v4, v17, v4, v26 op_sel:[0,0,1] op_sel_hi:[1,0,0] neg_lo:[1,0,0] neg_hi:[1,0,0]
	v_pk_fma_f16 v17, v18, v5, v27 op_sel:[0,0,1] op_sel_hi:[1,1,0]
	v_pk_fma_f16 v5, v18, v5, v27 op_sel:[0,0,1] op_sel_hi:[1,0,0] neg_lo:[1,0,0] neg_hi:[1,0,0]
	v_pk_fma_f16 v18, v19, v6, v28 op_sel:[0,0,1] op_sel_hi:[1,1,0]
	v_pk_fma_f16 v6, v19, v6, v28 op_sel:[0,0,1] op_sel_hi:[1,0,0] neg_lo:[1,0,0] neg_hi:[1,0,0]
	v_pk_fma_f16 v19, v20, v7, v29 op_sel:[0,0,1] op_sel_hi:[1,1,0]
	v_pk_fma_f16 v7, v20, v7, v29 op_sel:[0,0,1] op_sel_hi:[1,0,0] neg_lo:[1,0,0] neg_hi:[1,0,0]
	v_pk_fma_f16 v20, v21, v8, v30 op_sel:[0,0,1] op_sel_hi:[1,1,0]
	v_pk_fma_f16 v8, v21, v8, v30 op_sel:[0,0,1] op_sel_hi:[1,0,0] neg_lo:[1,0,0] neg_hi:[1,0,0]
	v_pk_fma_f16 v21, v9, v22, v31 op_sel:[0,0,1] op_sel_hi:[1,1,0]
	v_pk_fma_f16 v9, v9, v22, v31 op_sel:[0,0,1] op_sel_hi:[1,0,0] neg_lo:[0,0,1] neg_hi:[0,0,1]
	v_pk_fma_f16 v22, v23, v16, v32 op_sel:[0,0,1] op_sel_hi:[1,1,0]
	v_pk_fma_f16 v16, v23, v16, v32 op_sel:[0,0,1] op_sel_hi:[1,0,0] neg_lo:[0,0,1] neg_hi:[0,0,1]
	v_bfi_b32 v4, 0xffff, v33, v4
	v_bfi_b32 v5, 0xffff, v17, v5
	v_bfi_b32 v6, 0xffff, v18, v6
	v_bfi_b32 v7, 0xffff, v19, v7
	v_bfi_b32 v8, 0xffff, v20, v8
	v_bfi_b32 v9, 0xffff, v21, v9
	v_bfi_b32 v16, 0xffff, v22, v16
	v_pk_add_f16 v4, v25, v4 neg_lo:[0,1] neg_hi:[0,1]
	v_pk_add_f16 v5, v10, v5 neg_lo:[0,1] neg_hi:[0,1]
	;; [unrolled: 1-line block ×7, first 2 shown]
	v_pk_fma_f16 v17, v25, 2.0, v4 op_sel_hi:[1,0,1] neg_lo:[0,0,1] neg_hi:[0,0,1]
	v_pk_fma_f16 v10, v10, 2.0, v5 op_sel_hi:[1,0,1] neg_lo:[0,0,1] neg_hi:[0,0,1]
	;; [unrolled: 1-line block ×7, first 2 shown]
	ds_write2_b32 v1, v5, v6 offset0:136 offset1:153
	ds_write2_b32 v1, v7, v8 offset0:170 offset1:187
	;; [unrolled: 1-line block ×3, first 2 shown]
	ds_write2_b32 v1, v17, v10 offset1:17
	ds_write2_b32 v1, v11, v12 offset0:34 offset1:51
	ds_write2_b32 v1, v13, v14 offset0:68 offset1:85
	;; [unrolled: 1-line block ×3, first 2 shown]
	s_waitcnt lgkmcnt(0)
	s_barrier
	buffer_gl0_inv
	s_and_saveexec_b32 s0, vcc_lo
	s_cbranch_execz .LBB0_20
; %bb.19:
	v_lshl_add_u32 v18, v0, 2, v24
	v_mov_b32_e32 v1, 0
	v_add_co_u32 v19, vcc_lo, s2, v2
	v_add_co_ci_u32_e32 v20, vcc_lo, s3, v3, vcc_lo
	ds_read2_b32 v[4:5], v18 offset1:17
	v_lshlrev_b64 v[10:11], 2, v[0:1]
	v_add_nc_u32_e32 v2, 17, v0
	v_mov_b32_e32 v3, v1
	v_add_nc_u32_e32 v6, 34, v0
	v_mov_b32_e32 v7, v1
	ds_read2_b32 v[12:13], v18 offset0:34 offset1:51
	v_add_co_u32 v10, vcc_lo, v19, v10
	v_add_co_ci_u32_e32 v11, vcc_lo, v20, v11, vcc_lo
	v_lshlrev_b64 v[2:3], 2, v[2:3]
	v_add_nc_u32_e32 v8, 51, v0
	v_mov_b32_e32 v9, v1
	ds_read2_b32 v[14:15], v18 offset0:68 offset1:85
	v_lshlrev_b64 v[6:7], 2, v[6:7]
	v_add_nc_u32_e32 v16, 0x55, v0
	v_add_co_u32 v2, vcc_lo, v19, v2
	v_lshlrev_b64 v[8:9], 2, v[8:9]
	s_waitcnt lgkmcnt(2)
	global_store_dword v[10:11], v4, off
	v_add_nc_u32_e32 v10, 0x44, v0
	v_mov_b32_e32 v11, v1
	v_add_co_ci_u32_e32 v3, vcc_lo, v20, v3, vcc_lo
	v_add_co_u32 v6, vcc_lo, v19, v6
	v_lshlrev_b64 v[10:11], 2, v[10:11]
	v_add_co_ci_u32_e32 v7, vcc_lo, v20, v7, vcc_lo
	v_add_co_u32 v8, vcc_lo, v19, v8
	v_add_co_ci_u32_e32 v9, vcc_lo, v20, v9, vcc_lo
	v_add_co_u32 v10, vcc_lo, v19, v10
	v_mov_b32_e32 v17, v1
	v_add_co_ci_u32_e32 v11, vcc_lo, v20, v11, vcc_lo
	global_store_dword v[2:3], v5, off
	s_waitcnt lgkmcnt(1)
	global_store_dword v[6:7], v12, off
	global_store_dword v[8:9], v13, off
	s_waitcnt lgkmcnt(0)
	global_store_dword v[10:11], v14, off
	v_add_nc_u32_e32 v4, 0x66, v0
	v_mov_b32_e32 v5, v1
	v_lshlrev_b64 v[2:3], 2, v[16:17]
	ds_read2_b32 v[8:9], v18 offset0:102 offset1:119
	v_add_nc_u32_e32 v6, 0x77, v0
	v_mov_b32_e32 v7, v1
	ds_read2_b32 v[12:13], v18 offset0:136 offset1:153
	v_lshlrev_b64 v[4:5], 2, v[4:5]
	v_add_nc_u32_e32 v10, 0x88, v0
	v_mov_b32_e32 v11, v1
	v_add_co_u32 v2, vcc_lo, v19, v2
	v_lshlrev_b64 v[6:7], 2, v[6:7]
	v_add_co_ci_u32_e32 v3, vcc_lo, v20, v3, vcc_lo
	v_add_co_u32 v4, vcc_lo, v19, v4
	v_lshlrev_b64 v[10:11], 2, v[10:11]
	v_add_co_ci_u32_e32 v5, vcc_lo, v20, v5, vcc_lo
	v_add_co_u32 v6, vcc_lo, v19, v6
	v_add_co_ci_u32_e32 v7, vcc_lo, v20, v7, vcc_lo
	v_add_co_u32 v10, vcc_lo, v19, v10
	v_add_nc_u32_e32 v16, 0x99, v0
	v_add_co_ci_u32_e32 v11, vcc_lo, v20, v11, vcc_lo
	global_store_dword v[2:3], v15, off
	s_waitcnt lgkmcnt(1)
	global_store_dword v[4:5], v8, off
	global_store_dword v[6:7], v9, off
	s_waitcnt lgkmcnt(0)
	global_store_dword v[10:11], v12, off
	v_add_nc_u32_e32 v4, 0xaa, v0
	v_mov_b32_e32 v5, v1
	v_lshlrev_b64 v[2:3], 2, v[16:17]
	v_add_nc_u32_e32 v6, 0xbb, v0
	v_mov_b32_e32 v7, v1
	ds_read2_b32 v[8:9], v18 offset0:170 offset1:187
	v_lshlrev_b64 v[4:5], 2, v[4:5]
	v_add_nc_u32_e32 v10, 0xcc, v0
	v_mov_b32_e32 v11, v1
	ds_read2_b32 v[14:15], v18 offset0:204 offset1:221
	v_add_co_u32 v2, vcc_lo, v19, v2
	v_lshlrev_b64 v[6:7], 2, v[6:7]
	v_add_nc_u32_e32 v0, 0xdd, v0
	v_add_co_ci_u32_e32 v3, vcc_lo, v20, v3, vcc_lo
	v_add_co_u32 v4, vcc_lo, v19, v4
	v_lshlrev_b64 v[10:11], 2, v[10:11]
	v_add_co_ci_u32_e32 v5, vcc_lo, v20, v5, vcc_lo
	v_add_co_u32 v6, vcc_lo, v19, v6
	v_lshlrev_b64 v[0:1], 2, v[0:1]
	v_add_co_ci_u32_e32 v7, vcc_lo, v20, v7, vcc_lo
	v_add_co_u32 v10, vcc_lo, v19, v10
	v_add_co_ci_u32_e32 v11, vcc_lo, v20, v11, vcc_lo
	v_add_co_u32 v0, vcc_lo, v19, v0
	v_add_co_ci_u32_e32 v1, vcc_lo, v20, v1, vcc_lo
	global_store_dword v[2:3], v13, off
	s_waitcnt lgkmcnt(1)
	global_store_dword v[4:5], v8, off
	global_store_dword v[6:7], v9, off
	s_waitcnt lgkmcnt(0)
	global_store_dword v[10:11], v14, off
	global_store_dword v[0:1], v15, off
.LBB0_20:
	s_endpgm
	.section	.rodata,"a",@progbits
	.p2align	6, 0x0
	.amdhsa_kernel fft_rtc_back_len238_factors_17_7_2_wgs_51_tpt_17_halfLds_half_ip_CI_unitstride_sbrr_C2R_dirReg
		.amdhsa_group_segment_fixed_size 0
		.amdhsa_private_segment_fixed_size 0
		.amdhsa_kernarg_size 88
		.amdhsa_user_sgpr_count 6
		.amdhsa_user_sgpr_private_segment_buffer 1
		.amdhsa_user_sgpr_dispatch_ptr 0
		.amdhsa_user_sgpr_queue_ptr 0
		.amdhsa_user_sgpr_kernarg_segment_ptr 1
		.amdhsa_user_sgpr_dispatch_id 0
		.amdhsa_user_sgpr_flat_scratch_init 0
		.amdhsa_user_sgpr_private_segment_size 0
		.amdhsa_wavefront_size32 1
		.amdhsa_uses_dynamic_stack 0
		.amdhsa_system_sgpr_private_segment_wavefront_offset 0
		.amdhsa_system_sgpr_workgroup_id_x 1
		.amdhsa_system_sgpr_workgroup_id_y 0
		.amdhsa_system_sgpr_workgroup_id_z 0
		.amdhsa_system_sgpr_workgroup_info 0
		.amdhsa_system_vgpr_workitem_id 0
		.amdhsa_next_free_vgpr 138
		.amdhsa_next_free_sgpr 21
		.amdhsa_reserve_vcc 1
		.amdhsa_reserve_flat_scratch 0
		.amdhsa_float_round_mode_32 0
		.amdhsa_float_round_mode_16_64 0
		.amdhsa_float_denorm_mode_32 3
		.amdhsa_float_denorm_mode_16_64 3
		.amdhsa_dx10_clamp 1
		.amdhsa_ieee_mode 1
		.amdhsa_fp16_overflow 0
		.amdhsa_workgroup_processor_mode 1
		.amdhsa_memory_ordered 1
		.amdhsa_forward_progress 0
		.amdhsa_shared_vgpr_count 0
		.amdhsa_exception_fp_ieee_invalid_op 0
		.amdhsa_exception_fp_denorm_src 0
		.amdhsa_exception_fp_ieee_div_zero 0
		.amdhsa_exception_fp_ieee_overflow 0
		.amdhsa_exception_fp_ieee_underflow 0
		.amdhsa_exception_fp_ieee_inexact 0
		.amdhsa_exception_int_div_zero 0
	.end_amdhsa_kernel
	.text
.Lfunc_end0:
	.size	fft_rtc_back_len238_factors_17_7_2_wgs_51_tpt_17_halfLds_half_ip_CI_unitstride_sbrr_C2R_dirReg, .Lfunc_end0-fft_rtc_back_len238_factors_17_7_2_wgs_51_tpt_17_halfLds_half_ip_CI_unitstride_sbrr_C2R_dirReg
                                        ; -- End function
	.section	.AMDGPU.csdata,"",@progbits
; Kernel info:
; codeLenInByte = 10972
; NumSgprs: 23
; NumVgprs: 138
; ScratchSize: 0
; MemoryBound: 0
; FloatMode: 240
; IeeeMode: 1
; LDSByteSize: 0 bytes/workgroup (compile time only)
; SGPRBlocks: 2
; VGPRBlocks: 17
; NumSGPRsForWavesPerEU: 23
; NumVGPRsForWavesPerEU: 138
; Occupancy: 7
; WaveLimiterHint : 1
; COMPUTE_PGM_RSRC2:SCRATCH_EN: 0
; COMPUTE_PGM_RSRC2:USER_SGPR: 6
; COMPUTE_PGM_RSRC2:TRAP_HANDLER: 0
; COMPUTE_PGM_RSRC2:TGID_X_EN: 1
; COMPUTE_PGM_RSRC2:TGID_Y_EN: 0
; COMPUTE_PGM_RSRC2:TGID_Z_EN: 0
; COMPUTE_PGM_RSRC2:TIDIG_COMP_CNT: 0
	.text
	.p2alignl 6, 3214868480
	.fill 48, 4, 3214868480
	.type	__hip_cuid_9773feb16a7b6d55,@object ; @__hip_cuid_9773feb16a7b6d55
	.section	.bss,"aw",@nobits
	.globl	__hip_cuid_9773feb16a7b6d55
__hip_cuid_9773feb16a7b6d55:
	.byte	0                               ; 0x0
	.size	__hip_cuid_9773feb16a7b6d55, 1

	.ident	"AMD clang version 19.0.0git (https://github.com/RadeonOpenCompute/llvm-project roc-6.4.0 25133 c7fe45cf4b819c5991fe208aaa96edf142730f1d)"
	.section	".note.GNU-stack","",@progbits
	.addrsig
	.addrsig_sym __hip_cuid_9773feb16a7b6d55
	.amdgpu_metadata
---
amdhsa.kernels:
  - .args:
      - .actual_access:  read_only
        .address_space:  global
        .offset:         0
        .size:           8
        .value_kind:     global_buffer
      - .offset:         8
        .size:           8
        .value_kind:     by_value
      - .actual_access:  read_only
        .address_space:  global
        .offset:         16
        .size:           8
        .value_kind:     global_buffer
      - .actual_access:  read_only
        .address_space:  global
        .offset:         24
        .size:           8
        .value_kind:     global_buffer
      - .offset:         32
        .size:           8
        .value_kind:     by_value
      - .actual_access:  read_only
        .address_space:  global
        .offset:         40
        .size:           8
        .value_kind:     global_buffer
      - .actual_access:  read_only
        .address_space:  global
        .offset:         48
        .size:           8
        .value_kind:     global_buffer
      - .offset:         56
        .size:           4
        .value_kind:     by_value
      - .actual_access:  read_only
        .address_space:  global
        .offset:         64
        .size:           8
        .value_kind:     global_buffer
      - .actual_access:  read_only
        .address_space:  global
        .offset:         72
        .size:           8
        .value_kind:     global_buffer
      - .address_space:  global
        .offset:         80
        .size:           8
        .value_kind:     global_buffer
    .group_segment_fixed_size: 0
    .kernarg_segment_align: 8
    .kernarg_segment_size: 88
    .language:       OpenCL C
    .language_version:
      - 2
      - 0
    .max_flat_workgroup_size: 51
    .name:           fft_rtc_back_len238_factors_17_7_2_wgs_51_tpt_17_halfLds_half_ip_CI_unitstride_sbrr_C2R_dirReg
    .private_segment_fixed_size: 0
    .sgpr_count:     23
    .sgpr_spill_count: 0
    .symbol:         fft_rtc_back_len238_factors_17_7_2_wgs_51_tpt_17_halfLds_half_ip_CI_unitstride_sbrr_C2R_dirReg.kd
    .uniform_work_group_size: 1
    .uses_dynamic_stack: false
    .vgpr_count:     138
    .vgpr_spill_count: 0
    .wavefront_size: 32
    .workgroup_processor_mode: 1
amdhsa.target:   amdgcn-amd-amdhsa--gfx1030
amdhsa.version:
  - 1
  - 2
...

	.end_amdgpu_metadata
